;; amdgpu-corpus repo=ROCm/rocFFT kind=compiled arch=gfx906 opt=O3
	.text
	.amdgcn_target "amdgcn-amd-amdhsa--gfx906"
	.amdhsa_code_object_version 6
	.protected	bluestein_single_fwd_len748_dim1_sp_op_CI_CI ; -- Begin function bluestein_single_fwd_len748_dim1_sp_op_CI_CI
	.globl	bluestein_single_fwd_len748_dim1_sp_op_CI_CI
	.p2align	8
	.type	bluestein_single_fwd_len748_dim1_sp_op_CI_CI,@function
bluestein_single_fwd_len748_dim1_sp_op_CI_CI: ; @bluestein_single_fwd_len748_dim1_sp_op_CI_CI
; %bb.0:
	s_mov_b64 s[22:23], s[2:3]
	v_mul_u32_u24_e32 v1, 0x3c4, v0
	s_mov_b64 s[20:21], s[0:1]
	s_load_dwordx4 s[0:3], s[4:5], 0x28
	v_lshrrev_b32_e32 v1, 16, v1
	s_add_u32 s20, s20, s7
	v_mad_u64_u32 v[60:61], s[6:7], s6, 3, v[1:2]
	v_mov_b32_e32 v61, 0
	s_addc_u32 s21, s21, 0
	s_waitcnt lgkmcnt(0)
	v_cmp_gt_u64_e32 vcc, s[0:1], v[60:61]
	s_and_saveexec_b64 s[0:1], vcc
	s_cbranch_execz .LBB0_23
; %bb.1:
	s_mov_b32 s0, 0xaaaaaaab
	v_mul_hi_u32 v2, v60, s0
	v_mul_lo_u16_e32 v1, 0x44, v1
	s_load_dwordx2 s[12:13], s[4:5], 0x0
	s_load_dwordx2 s[14:15], s[4:5], 0x38
	v_sub_u16_e32 v87, v0, v1
	v_lshrrev_b32_e32 v0, 1, v2
	v_lshl_add_u32 v0, v0, 1, v0
	v_sub_u32_e32 v0, v60, v0
	v_mul_u32_u24_e32 v46, 0x2ec, v0
	v_cmp_gt_u16_e32 vcc, 44, v87
	v_lshlrev_b32_e32 v88, 3, v87
	v_lshlrev_b32_e32 v89, 3, v46
	s_and_saveexec_b64 s[6:7], vcc
	s_cbranch_execz .LBB0_3
; %bb.2:
	s_load_dwordx2 s[0:1], s[4:5], 0x18
	v_or_b32_e32 v76, 0x2c0, v87
	s_waitcnt lgkmcnt(0)
	s_load_dwordx4 s[8:11], s[0:1], 0x0
	s_waitcnt lgkmcnt(0)
	v_mad_u64_u32 v[0:1], s[0:1], s10, v60, 0
	v_mad_u64_u32 v[2:3], s[0:1], s8, v87, 0
	;; [unrolled: 1-line block ×4, first 2 shown]
	v_mov_b32_e32 v1, v4
	v_lshlrev_b64 v[0:1], 3, v[0:1]
	v_mov_b32_e32 v3, v5
	v_mov_b32_e32 v6, s3
	v_lshlrev_b64 v[2:3], 3, v[2:3]
	v_add_co_u32_e64 v74, s[0:1], s2, v0
	v_addc_co_u32_e64 v75, s[0:1], v6, v1, s[0:1]
	v_add_co_u32_e64 v0, s[0:1], v74, v2
	v_addc_co_u32_e64 v1, s[0:1], v75, v3, s[0:1]
	v_mov_b32_e32 v2, s13
	v_add_co_u32_e64 v53, s[0:1], s12, v88
	v_addc_co_u32_e64 v54, s[0:1], 0, v2, s[0:1]
	s_mul_i32 s0, s9, 0x160
	s_mul_hi_u32 s3, s8, 0x160
	s_add_i32 s3, s3, s0
	s_mul_i32 s2, s8, 0x160
	v_mov_b32_e32 v3, s3
	v_add_co_u32_e64 v2, s[0:1], s2, v0
	v_addc_co_u32_e64 v3, s[0:1], v1, v3, s[0:1]
	v_mov_b32_e32 v5, s3
	v_add_co_u32_e64 v4, s[0:1], s2, v2
	v_addc_co_u32_e64 v5, s[0:1], v3, v5, s[0:1]
	;; [unrolled: 3-line block ×3, first 2 shown]
	global_load_dwordx2 v[6:7], v88, s[12:13]
	global_load_dwordx2 v[8:9], v88, s[12:13] offset:352
	global_load_dwordx2 v[10:11], v88, s[12:13] offset:704
	global_load_dwordx2 v[14:15], v[0:1], off
	global_load_dwordx2 v[16:17], v[2:3], off
	global_load_dwordx2 v[18:19], v[4:5], off
	global_load_dwordx2 v[20:21], v[12:13], off
	v_mov_b32_e32 v1, s3
	v_add_co_u32_e64 v0, s[0:1], s2, v12
	v_addc_co_u32_e64 v1, s[0:1], v13, v1, s[0:1]
	global_load_dwordx2 v[2:3], v[0:1], off
	v_mov_b32_e32 v4, s3
	v_add_co_u32_e64 v0, s[0:1], s2, v0
	v_addc_co_u32_e64 v1, s[0:1], v1, v4, s[0:1]
	global_load_dwordx2 v[4:5], v[0:1], off
	v_mov_b32_e32 v12, s3
	v_add_co_u32_e64 v0, s[0:1], s2, v0
	v_addc_co_u32_e64 v1, s[0:1], v1, v12, s[0:1]
	global_load_dwordx2 v[12:13], v[0:1], off
	global_load_dwordx2 v[22:23], v88, s[12:13] offset:1056
	global_load_dwordx2 v[24:25], v88, s[12:13] offset:1408
	;; [unrolled: 1-line block ×4, first 2 shown]
	v_mov_b32_e32 v30, s3
	v_add_co_u32_e64 v0, s[0:1], s2, v0
	v_addc_co_u32_e64 v1, s[0:1], v1, v30, s[0:1]
	global_load_dwordx2 v[30:31], v[0:1], off
	v_mov_b32_e32 v32, s3
	v_add_co_u32_e64 v0, s[0:1], s2, v0
	v_addc_co_u32_e64 v1, s[0:1], v1, v32, s[0:1]
	global_load_dwordx2 v[32:33], v[0:1], off
	;; [unrolled: 4-line block ×4, first 2 shown]
	global_load_dwordx2 v[38:39], v88, s[12:13] offset:2464
	global_load_dwordx2 v[40:41], v88, s[12:13] offset:2816
	;; [unrolled: 1-line block ×4, first 2 shown]
	v_mov_b32_e32 v47, s3
	v_add_co_u32_e64 v0, s[0:1], s2, v0
	v_addc_co_u32_e64 v1, s[0:1], v1, v47, s[0:1]
	global_load_dwordx2 v[47:48], v[0:1], off
	global_load_dwordx2 v[49:50], v88, s[12:13] offset:3872
	v_mov_b32_e32 v51, s3
	v_add_co_u32_e64 v0, s[0:1], s2, v0
	v_addc_co_u32_e64 v1, s[0:1], v1, v51, s[0:1]
	s_movk_i32 s0, 0x1000
	v_add_co_u32_e64 v53, s[0:1], s0, v53
	v_addc_co_u32_e64 v54, s[0:1], 0, v54, s[0:1]
	global_load_dwordx2 v[51:52], v[0:1], off
	v_mov_b32_e32 v57, s3
	v_add_co_u32_e64 v0, s[0:1], s2, v0
	v_addc_co_u32_e64 v1, s[0:1], v1, v57, s[0:1]
	global_load_dwordx2 v[57:58], v[0:1], off
	v_mov_b32_e32 v59, s3
	v_add_co_u32_e64 v0, s[0:1], s2, v0
	v_addc_co_u32_e64 v1, s[0:1], v1, v59, s[0:1]
	v_mad_u64_u32 v[63:64], s[0:1], s8, v76, 0
	global_load_dwordx2 v[61:62], v[0:1], off
	v_add_co_u32_e64 v0, s[0:1], s2, v0
	v_addc_co_u32_e64 v1, s[0:1], v1, v59, s[0:1]
	v_mov_b32_e32 v59, v64
	v_mad_u64_u32 v[67:68], s[0:1], s9, v76, v[59:60]
	global_load_dwordx2 v[55:56], v[53:54], off offset:128
	global_load_dwordx2 v[65:66], v[53:54], off offset:480
	v_mov_b32_e32 v64, v67
	global_load_dwordx2 v[68:69], v[0:1], off
	global_load_dwordx2 v[70:71], v[53:54], off offset:832
	global_load_dwordx2 v[72:73], v[53:54], off offset:1184
	v_lshlrev_b64 v[0:1], 3, v[63:64]
	v_lshlrev_b32_e32 v53, 3, v76
	v_add_co_u32_e64 v0, s[0:1], v74, v0
	v_addc_co_u32_e64 v1, s[0:1], v75, v1, s[0:1]
	global_load_dwordx2 v[0:1], v[0:1], off
	s_waitcnt vmcnt(29)
	v_mul_f32_e32 v63, v15, v7
	global_load_dwordx2 v[53:54], v53, s[12:13]
	v_mul_f32_e32 v7, v14, v7
	v_fmac_f32_e32 v63, v14, v6
	v_fma_f32 v64, v15, v6, -v7
	s_waitcnt vmcnt(29)
	v_mul_f32_e32 v6, v17, v9
	v_mul_f32_e32 v7, v16, v9
	v_fmac_f32_e32 v6, v16, v8
	v_fma_f32 v7, v17, v8, -v7
	s_waitcnt vmcnt(28)
	v_mul_f32_e32 v8, v19, v11
	v_mul_f32_e32 v9, v18, v11
	v_lshl_add_u32 v59, v87, 3, v89
	v_add_u32_e32 v14, v89, v88
	v_fmac_f32_e32 v8, v18, v10
	v_fma_f32 v9, v19, v10, -v9
	ds_write_b64 v59, v[63:64]
	ds_write2_b64 v14, v[6:7], v[8:9] offset0:44 offset1:88
	s_waitcnt vmcnt(22)
	v_mul_f32_e32 v8, v3, v25
	v_fmac_f32_e32 v8, v2, v24
	v_mul_f32_e32 v2, v2, v25
	v_mul_f32_e32 v6, v21, v23
	;; [unrolled: 1-line block ×3, first 2 shown]
	v_fma_f32 v9, v3, v24, -v2
	s_waitcnt vmcnt(21)
	v_mul_f32_e32 v2, v5, v27
	v_mul_f32_e32 v3, v4, v27
	v_fmac_f32_e32 v6, v20, v22
	v_fma_f32 v7, v21, v22, -v7
	v_fmac_f32_e32 v2, v4, v26
	v_fma_f32 v3, v5, v26, -v3
	s_waitcnt vmcnt(20)
	v_mul_f32_e32 v4, v13, v29
	v_mul_f32_e32 v5, v12, v29
	ds_write2_b64 v14, v[6:7], v[8:9] offset0:132 offset1:176
	v_fmac_f32_e32 v4, v12, v28
	v_fma_f32 v5, v13, v28, -v5
	v_add_u32_e32 v6, 0x400, v14
	ds_write2_b64 v6, v[2:3], v[4:5] offset0:92 offset1:136
	s_waitcnt vmcnt(15)
	v_mul_f32_e32 v2, v31, v39
	v_mul_f32_e32 v3, v30, v39
	s_waitcnt vmcnt(14)
	v_mul_f32_e32 v4, v33, v41
	v_mul_f32_e32 v5, v32, v41
	v_fmac_f32_e32 v2, v30, v38
	v_fma_f32 v3, v31, v38, -v3
	v_fmac_f32_e32 v4, v32, v40
	v_fma_f32 v5, v33, v40, -v5
	v_add_u32_e32 v6, 0x800, v14
	ds_write2_b64 v6, v[2:3], v[4:5] offset0:52 offset1:96
	s_waitcnt vmcnt(13)
	v_mul_f32_e32 v2, v35, v43
	v_mul_f32_e32 v3, v34, v43
	s_waitcnt vmcnt(12)
	v_mul_f32_e32 v4, v37, v45
	v_mul_f32_e32 v5, v36, v45
	v_fmac_f32_e32 v2, v34, v42
	v_fma_f32 v3, v35, v42, -v3
	v_fmac_f32_e32 v4, v36, v44
	v_fma_f32 v5, v37, v44, -v5
	ds_write2_b64 v6, v[2:3], v[4:5] offset0:140 offset1:184
	s_waitcnt vmcnt(10)
	v_mul_f32_e32 v2, v48, v50
	v_mul_f32_e32 v3, v47, v50
	v_fmac_f32_e32 v2, v47, v49
	v_fma_f32 v3, v48, v49, -v3
	v_add_u32_e32 v6, 0xc00, v14
	s_waitcnt vmcnt(6)
	v_mul_f32_e32 v4, v52, v56
	v_mul_f32_e32 v5, v51, v56
	v_fmac_f32_e32 v4, v51, v55
	v_fma_f32 v5, v52, v55, -v5
	ds_write2_b64 v6, v[2:3], v[4:5] offset0:100 offset1:144
	s_waitcnt vmcnt(5)
	v_mul_f32_e32 v2, v58, v66
	v_mul_f32_e32 v3, v57, v66
	s_waitcnt vmcnt(3)
	v_mul_f32_e32 v4, v62, v71
	v_mul_f32_e32 v5, v61, v71
	v_fmac_f32_e32 v2, v57, v65
	v_fma_f32 v3, v58, v65, -v3
	v_fmac_f32_e32 v4, v61, v70
	v_fma_f32 v5, v62, v70, -v5
	v_add_u32_e32 v6, 0x1000, v14
	ds_write2_b64 v6, v[2:3], v[4:5] offset0:60 offset1:104
	s_waitcnt vmcnt(0)
	v_mul_f32_e32 v4, v1, v54
	v_mul_f32_e32 v2, v69, v73
	;; [unrolled: 1-line block ×3, first 2 shown]
	v_fmac_f32_e32 v4, v0, v53
	v_mul_f32_e32 v0, v0, v54
	v_fmac_f32_e32 v2, v68, v72
	v_fma_f32 v3, v69, v72, -v3
	v_fma_f32 v5, v1, v53, -v0
	ds_write2_b64 v6, v[2:3], v[4:5] offset0:148 offset1:192
.LBB0_3:
	s_or_b64 exec, exec, s[6:7]
	v_mov_b32_e32 v4, 0
	v_mov_b32_e32 v5, 0
	s_waitcnt lgkmcnt(0)
	s_barrier
	s_waitcnt lgkmcnt(0)
                                        ; implicit-def: $vgpr10
                                        ; implicit-def: $vgpr24
                                        ; implicit-def: $vgpr32
                                        ; implicit-def: $vgpr44
                                        ; implicit-def: $vgpr30
                                        ; implicit-def: $vgpr22
                                        ; implicit-def: $vgpr18
                                        ; implicit-def: $vgpr14
	s_and_saveexec_b64 s[0:1], vcc
	s_cbranch_execz .LBB0_5
; %bb.4:
	v_lshl_add_u32 v0, v46, 3, v88
	v_add_u32_e32 v1, 0x800, v0
	ds_read2_b64 v[4:7], v0 offset1:44
	ds_read2_b64 v[12:15], v0 offset0:88 offset1:132
	ds_read2_b64 v[16:19], v0 offset0:176 offset1:220
	;; [unrolled: 1-line block ×5, first 2 shown]
	v_add_u32_e32 v1, 0x1000, v0
	ds_read2_b64 v[24:27], v1 offset0:16 offset1:60
	ds_read2_b64 v[32:35], v1 offset0:104 offset1:148
	ds_read_b64 v[44:45], v0 offset:5632
.LBB0_5:
	s_or_b64 exec, exec, s[0:1]
	s_waitcnt lgkmcnt(0)
	v_sub_f32_e32 v41, v7, v45
	v_mul_f32_e32 v47, 0xbeb8f4ab, v41
	v_sub_f32_e32 v43, v13, v35
	v_add_f32_e32 v59, v44, v6
	v_sub_f32_e32 v40, v6, v44
	v_mov_b32_e32 v0, v47
	v_mul_f32_e32 v49, 0xbf2c7751, v43
	v_add_f32_e32 v67, v45, v7
	s_mov_b32 s0, 0x3f6eb680
	v_mul_f32_e32 v48, 0xbeb8f4ab, v40
	v_fmac_f32_e32 v0, 0x3f6eb680, v59
	v_add_f32_e32 v69, v34, v12
	v_sub_f32_e32 v42, v12, v34
	v_mov_b32_e32 v2, v49
	v_add_f32_e32 v0, v0, v4
	v_fma_f32 v1, v67, s0, -v48
	s_mov_b32 s1, 0x3f3d2fb0
	v_add_f32_e32 v70, v35, v13
	v_mul_f32_e32 v50, 0xbf2c7751, v42
	v_fmac_f32_e32 v2, 0x3f3d2fb0, v69
	v_sub_f32_e32 v102, v15, v33
	v_add_f32_e32 v1, v1, v5
	v_add_f32_e32 v0, v2, v0
	v_fma_f32 v2, v70, s1, -v50
	v_mul_f32_e32 v51, 0xbf65296c, v102
	v_add_f32_e32 v1, v2, v1
	v_add_f32_e32 v73, v32, v14
	v_sub_f32_e32 v90, v14, v32
	v_mov_b32_e32 v2, v51
	s_mov_b32 s2, 0x3ee437d1
	v_add_f32_e32 v74, v33, v15
	v_mul_f32_e32 v52, 0xbf65296c, v90
	v_fmac_f32_e32 v2, 0x3ee437d1, v73
	v_sub_f32_e32 v121, v17, v27
	v_add_f32_e32 v0, v2, v0
	v_fma_f32 v2, v74, s2, -v52
	v_mul_f32_e32 v53, 0xbf7ee86f, v121
	v_add_f32_e32 v1, v2, v1
	v_add_f32_e32 v76, v26, v16
	v_sub_f32_e32 v118, v16, v26
	v_mov_b32_e32 v2, v53
	s_mov_b32 s3, 0x3dbcf732
	v_add_f32_e32 v77, v27, v17
	v_mul_f32_e32 v54, 0xbf7ee86f, v118
	v_fmac_f32_e32 v2, 0x3dbcf732, v76
	v_sub_f32_e32 v130, v19, v25
	;; [unrolled: 12-line block ×5, first 2 shown]
	v_add_f32_e32 v0, v2, v0
	v_fma_f32 v2, v106, s8, -v71
	v_mul_f32_e32 v72, 0xbe3c28d5, v195
	v_add_f32_e32 v1, v2, v1
	v_add_f32_e32 v119, v30, v28
	v_mov_b32_e32 v2, v72
	v_sub_f32_e32 v196, v28, v30
	s_mov_b32 s9, 0xbf7ba420
	v_fmac_f32_e32 v2, 0xbf7ba420, v119
	v_add_f32_e32 v123, v31, v29
	v_mul_f32_e32 v75, 0xbe3c28d5, v196
	v_mul_f32_e32 v78, 0xbf2c7751, v41
	v_fma_f32 v3, v123, s9, -v75
	v_add_f32_e32 v2, v2, v0
	v_mov_b32_e32 v0, v78
	v_mul_f32_e32 v79, 0xbf7ee86f, v43
	v_add_f32_e32 v3, v3, v1
	v_fmac_f32_e32 v0, 0x3f3d2fb0, v59
	v_mov_b32_e32 v1, v79
	v_add_f32_e32 v0, v0, v4
	v_fmac_f32_e32 v1, 0x3dbcf732, v69
	v_mul_f32_e32 v83, 0xbf2c7751, v40
	v_add_f32_e32 v0, v1, v0
	v_fma_f32 v1, v67, s1, -v83
	v_mul_f32_e32 v84, 0xbf7ee86f, v42
	v_add_f32_e32 v1, v1, v5
	v_fma_f32 v36, v70, s3, -v84
	v_mul_f32_e32 v80, 0xbf4c4adb, v102
	v_add_f32_e32 v1, v36, v1
	v_mov_b32_e32 v36, v80
	v_fmac_f32_e32 v36, 0xbf1a4643, v73
	v_mul_f32_e32 v86, 0xbf4c4adb, v90
	v_add_f32_e32 v0, v36, v0
	v_fma_f32 v36, v74, s7, -v86
	v_mul_f32_e32 v81, 0xbe3c28d5, v121
	v_add_f32_e32 v1, v36, v1
	v_mov_b32_e32 v36, v81
	v_fmac_f32_e32 v36, 0xbf7ba420, v76
	v_mul_f32_e32 v92, 0xbe3c28d5, v118
	v_add_f32_e32 v0, v36, v0
	v_fma_f32 v36, v77, s9, -v92
	v_mul_f32_e32 v82, 0x3f06c442, v130
	v_add_f32_e32 v1, v36, v1
	v_mov_b32_e32 v36, v82
	v_fmac_f32_e32 v36, 0xbf59a7d5, v96
	v_mul_f32_e32 v94, 0x3f06c442, v128
	v_add_f32_e32 v0, v36, v0
	v_fma_f32 v36, v97, s8, -v94
	v_mul_f32_e32 v85, 0x3f763a35, v144
	v_add_f32_e32 v1, v36, v1
	v_mov_b32_e32 v36, v85
	v_fmac_f32_e32 v36, 0xbe8c1d8e, v100
	v_mul_f32_e32 v95, 0x3f763a35, v143
	v_add_f32_e32 v0, v36, v0
	v_fma_f32 v36, v101, s6, -v95
	v_mul_f32_e32 v91, 0x3f65296c, v194
	v_add_f32_e32 v1, v36, v1
	v_mov_b32_e32 v36, v91
	v_fmac_f32_e32 v36, 0x3ee437d1, v105
	v_mul_f32_e32 v98, 0x3f65296c, v193
	v_add_f32_e32 v0, v36, v0
	v_fma_f32 v36, v106, s2, -v98
	v_mul_f32_e32 v93, 0x3eb8f4ab, v195
	v_add_f32_e32 v1, v36, v1
	v_mov_b32_e32 v36, v93
	v_fmac_f32_e32 v36, 0x3f6eb680, v119
	v_mul_f32_e32 v99, 0x3eb8f4ab, v196
	v_add_f32_e32 v0, v36, v0
	v_fma_f32 v36, v123, s0, -v99
	v_mul_f32_e32 v103, 0xbf65296c, v41
	v_add_f32_e32 v1, v36, v1
	v_mov_b32_e32 v36, v103
	v_mul_f32_e32 v104, 0xbf4c4adb, v43
	v_fmac_f32_e32 v36, 0x3ee437d1, v59
	v_mov_b32_e32 v37, v104
	v_add_f32_e32 v36, v36, v4
	v_fmac_f32_e32 v37, 0xbf1a4643, v69
	v_mul_f32_e32 v110, 0xbf65296c, v40
	v_add_f32_e32 v36, v37, v36
	v_fma_f32 v37, v67, s2, -v110
	v_mul_f32_e32 v111, 0xbf4c4adb, v42
	v_add_f32_e32 v37, v37, v5
	v_fma_f32 v38, v70, s7, -v111
	v_mul_f32_e32 v107, 0x3e3c28d5, v102
	v_add_f32_e32 v37, v38, v37
	v_mov_b32_e32 v38, v107
	v_fmac_f32_e32 v38, 0xbf7ba420, v73
	v_mul_f32_e32 v113, 0x3e3c28d5, v90
	v_add_f32_e32 v36, v38, v36
	v_fma_f32 v38, v74, s9, -v113
	v_mul_f32_e32 v108, 0x3f763a35, v121
	v_add_f32_e32 v37, v38, v37
	v_mov_b32_e32 v38, v108
	v_fmac_f32_e32 v38, 0xbe8c1d8e, v76
	v_mul_f32_e32 v115, 0x3f763a35, v118
	v_add_f32_e32 v36, v38, v36
	v_fma_f32 v38, v77, s6, -v115
	v_mul_f32_e32 v109, 0x3f2c7751, v130
	v_add_f32_e32 v37, v38, v37
	v_mov_b32_e32 v38, v109
	v_fmac_f32_e32 v38, 0x3f3d2fb0, v96
	v_mul_f32_e32 v117, 0x3f2c7751, v128
	v_add_f32_e32 v36, v38, v36
	v_fma_f32 v38, v97, s1, -v117
	v_mul_f32_e32 v112, 0xbeb8f4ab, v144
	v_add_f32_e32 v37, v38, v37
	v_mov_b32_e32 v38, v112
	v_fmac_f32_e32 v38, 0x3f6eb680, v100
	v_mul_f32_e32 v120, 0xbeb8f4ab, v143
	v_add_f32_e32 v36, v38, v36
	v_fma_f32 v38, v101, s0, -v120
	v_mul_f32_e32 v114, 0xbf7ee86f, v194
	v_add_f32_e32 v37, v38, v37
	v_mov_b32_e32 v38, v114
	v_fmac_f32_e32 v38, 0x3dbcf732, v105
	v_mul_f32_e32 v122, 0xbf7ee86f, v193
	v_add_f32_e32 v36, v38, v36
	v_fma_f32 v38, v106, s3, -v122
	v_mul_f32_e32 v116, 0xbf06c442, v195
	v_add_f32_e32 v37, v38, v37
	v_mov_b32_e32 v38, v116
	v_fmac_f32_e32 v38, 0xbf59a7d5, v119
	v_mul_f32_e32 v124, 0xbf06c442, v196
	v_add_f32_e32 v61, v38, v36
	v_fma_f32 v36, v123, s8, -v124
	v_mul_f32_e32 v125, 0xbf7ee86f, v41
	v_add_f32_e32 v62, v36, v37
	v_mov_b32_e32 v36, v125
	v_mul_f32_e32 v126, 0xbe3c28d5, v43
	;; [unrolled: 56-line block ×4, first 2 shown]
	v_fmac_f32_e32 v36, 0xbf1a4643, v59
	v_mov_b32_e32 v37, v162
	v_add_f32_e32 v36, v36, v4
	v_fmac_f32_e32 v37, 0xbe8c1d8e, v69
	v_mul_f32_e32 v166, 0xbf4c4adb, v40
	v_add_f32_e32 v36, v37, v36
	v_fma_f32 v37, v67, s7, -v166
	v_mul_f32_e32 v167, 0x3f763a35, v42
	v_add_f32_e32 v37, v37, v5
	v_fma_f32 v38, v70, s6, -v167
	v_mul_f32_e32 v163, 0xbeb8f4ab, v102
	v_add_f32_e32 v37, v38, v37
	v_mov_b32_e32 v38, v163
	v_fmac_f32_e32 v38, 0x3f6eb680, v73
	v_mul_f32_e32 v169, 0xbeb8f4ab, v90
	v_add_f32_e32 v36, v38, v36
	v_fma_f32 v38, v74, s0, -v169
	v_mul_f32_e32 v164, 0xbf06c442, v121
	v_add_f32_e32 v37, v38, v37
	v_mov_b32_e32 v38, v164
	v_fmac_f32_e32 v38, 0xbf59a7d5, v76
	;; [unrolled: 7-line block ×6, first 2 shown]
	v_mul_f32_e32 v176, 0x3f65296c, v196
	v_mul_f32_e32 v183, 0xbf06c442, v41
	v_fma_f32 v39, v123, s2, -v176
	v_add_f32_e32 v38, v38, v36
	v_mov_b32_e32 v36, v183
	v_mul_f32_e32 v184, 0x3f65296c, v43
	v_add_f32_e32 v39, v39, v37
	v_fmac_f32_e32 v36, 0xbf59a7d5, v59
	v_mov_b32_e32 v37, v184
	v_add_f32_e32 v36, v36, v4
	v_fmac_f32_e32 v37, 0x3ee437d1, v69
	v_mul_f32_e32 v177, 0xbf7ee86f, v102
	v_add_f32_e32 v36, v37, v36
	v_mov_b32_e32 v37, v177
	v_fmac_f32_e32 v37, 0x3dbcf732, v73
	v_mul_f32_e32 v178, 0x3f4c4adb, v121
	v_add_f32_e32 v36, v37, v36
	v_mov_b32_e32 v37, v178
	;; [unrolled: 4-line block ×6, first 2 shown]
	v_fmac_f32_e32 v37, 0xbe8c1d8e, v119
	v_mul_f32_e32 v191, 0xbf06c442, v40
	v_add_f32_e32 v36, v37, v36
	v_fma_f32 v37, v67, s8, -v191
	v_mul_f32_e32 v192, 0x3f65296c, v42
	v_add_f32_e32 v37, v37, v5
	v_fma_f32 v185, v70, s2, -v192
	;; [unrolled: 3-line block ×7, first 2 shown]
	v_add_f32_e32 v37, v185, v37
	v_mul_f32_e32 v185, 0xbf763a35, v196
	v_fma_f32 v197, v123, s6, -v185
	v_add_f32_e32 v37, v197, v37
	v_mul_f32_e32 v197, 0xbe3c28d5, v41
	v_fma_f32 v41, v59, s9, -v197
	v_mul_f32_e32 v43, 0x3eb8f4ab, v43
	v_add_f32_e32 v41, v41, v4
	v_fma_f32 v198, v69, s0, -v43
	v_add_f32_e32 v41, v198, v41
	v_mul_f32_e32 v198, 0xbe3c28d5, v40
	v_mov_b32_e32 v40, v198
	v_mul_f32_e32 v199, 0x3eb8f4ab, v42
	v_fmac_f32_e32 v40, 0xbf7ba420, v67
	v_mov_b32_e32 v42, v199
	v_add_f32_e32 v40, v40, v5
	v_fmac_f32_e32 v42, 0x3f6eb680, v70
	v_add_f32_e32 v40, v42, v40
	v_mul_f32_e32 v42, 0xbf06c442, v102
	v_fma_f32 v102, v73, s8, -v42
	v_mul_f32_e32 v90, 0xbf06c442, v90
	v_add_f32_e32 v41, v102, v41
	v_mov_b32_e32 v102, v90
	v_fmac_f32_e32 v102, 0xbf59a7d5, v74
	v_add_f32_e32 v40, v102, v40
	v_mul_f32_e32 v102, 0x3f2c7751, v121
	v_fma_f32 v121, v76, s1, -v102
	v_mul_f32_e32 v118, 0x3f2c7751, v118
	v_add_f32_e32 v41, v121, v41
	v_mov_b32_e32 v121, v118
	;; [unrolled: 7-line block ×5, first 2 shown]
	v_mul_f32_e32 v196, 0x3f7ee86f, v196
	v_fmac_f32_e32 v194, 0xbe8c1d8e, v106
	v_mul_f32_e32 v195, 0x3f7ee86f, v195
	v_mov_b32_e32 v200, v196
	v_add_f32_e32 v194, v194, v40
	v_fmac_f32_e32 v200, 0x3dbcf732, v123
	v_fma_f32 v40, v119, s3, -v195
	v_fmac_f32_e32 v197, 0xbf7ba420, v59
	v_add_f32_e32 v40, v40, v41
	v_add_f32_e32 v41, v200, v194
	;; [unrolled: 1-line block ×3, first 2 shown]
	v_fmac_f32_e32 v43, 0x3f6eb680, v69
	v_add_f32_e32 v43, v43, v194
	v_fmac_f32_e32 v42, 0xbf59a7d5, v73
	v_add_f32_e32 v42, v42, v43
	v_fmac_f32_e32 v102, 0x3f3d2fb0, v76
	v_fma_f32 v43, v67, s9, -v198
	v_add_f32_e32 v42, v102, v42
	v_add_f32_e32 v43, v43, v5
	v_fma_f32 v102, v70, s0, -v199
	v_add_f32_e32 v43, v102, v43
	v_fma_f32 v90, v74, s8, -v90
	;; [unrolled: 2-line block ×6, first 2 shown]
	v_fmac_f32_e32 v121, 0xbf1a4643, v96
	v_add_f32_e32 v43, v90, v43
	v_fma_f32 v90, v123, s3, -v196
	s_load_dwordx2 s[6:7], s[4:5], 0x20
	s_load_dwordx2 s[2:3], s[4:5], 0x8
	v_add_f32_e32 v42, v121, v42
	v_fmac_f32_e32 v130, 0x3ee437d1, v100
	v_add_f32_e32 v42, v130, v42
	v_fmac_f32_e32 v144, 0xbe8c1d8e, v105
	;; [unrolled: 2-line block ×3, first 2 shown]
	v_add_f32_e32 v42, v195, v42
	v_add_f32_e32 v43, v90, v43
	v_mul_lo_u16_e32 v201, 17, v87
	s_waitcnt lgkmcnt(0)
	s_barrier
	s_and_saveexec_b64 s[0:1], vcc
	s_cbranch_execz .LBB0_7
; %bb.6:
	v_mul_f32_e32 v90, 0x3f6eb680, v59
	v_mul_f32_e32 v118, 0x3f6eb680, v67
	;; [unrolled: 1-line block ×17, first 2 shown]
	v_mov_b32_e32 v102, v57
	v_mov_b32_e32 v57, v55
	v_mov_b32_e32 v55, v53
	v_mov_b32_e32 v53, v51
	v_mov_b32_e32 v51, v49
	v_mov_b32_e32 v49, v47
	v_mul_f32_e32 v47, 0x3dbcf732, v70
	v_mul_f32_e32 v202, 0xbf1a4643, v69
	;; [unrolled: 1-line block ×11, first 2 shown]
	v_add_f32_e32 v67, v191, v67
	v_sub_f32_e32 v59, v59, v183
	v_mul_f32_e32 v210, 0x3ee437d1, v73
	v_mul_f32_e32 v211, 0x3ee437d1, v74
	;; [unrolled: 1-line block ×14, first 2 shown]
	v_add_f32_e32 v70, v192, v70
	v_add_f32_e32 v67, v67, v5
	v_sub_f32_e32 v69, v69, v184
	v_add_f32_e32 v59, v59, v4
	v_mul_f32_e32 v222, 0x3dbcf732, v76
	v_mul_f32_e32 v223, 0x3dbcf732, v77
	v_mul_f32_e32 v224, 0xbf7ba420, v76
	v_mul_f32_e32 v225, 0xbf7ba420, v77
	v_mul_f32_e32 v226, 0xbe8c1d8e, v76
	v_mul_f32_e32 v227, 0xbe8c1d8e, v77
	v_mul_f32_e32 v228, 0x3f6eb680, v76
	v_mul_f32_e32 v229, 0x3f6eb680, v77
	v_mul_f32_e32 v230, 0x3ee437d1, v76
	v_mul_f32_e32 v231, 0x3ee437d1, v77
	v_mul_f32_e32 v232, 0xbf59a7d5, v76
	v_mul_f32_e32 v233, 0xbf59a7d5, v77
	v_mul_f32_e32 v76, 0xbf1a4643, v76
	v_mul_f32_e32 v77, 0xbf1a4643, v77
	v_add_f32_e32 v67, v70, v67
	v_add_f32_e32 v70, v190, v74
	v_add_f32_e32 v59, v69, v59
	v_sub_f32_e32 v73, v73, v177
	v_mul_f32_e32 v234, 0xbe8c1d8e, v96
	v_mul_f32_e32 v235, 0xbe8c1d8e, v97
	v_mul_f32_e32 v236, 0xbf59a7d5, v96
	v_mul_f32_e32 v237, 0xbf59a7d5, v97
	v_mul_f32_e32 v238, 0x3f3d2fb0, v96
	v_mul_f32_e32 v239, 0x3f3d2fb0, v97
	v_mul_f32_e32 v240, 0x3ee437d1, v96
	v_mul_f32_e32 v241, 0x3ee437d1, v97
	v_mul_f32_e32 v242, 0xbf7ba420, v96
	v_mul_f32_e32 v243, 0xbf7ba420, v97
	v_mul_f32_e32 v244, 0x3dbcf732, v96
	v_mul_f32_e32 v245, 0x3dbcf732, v97
	v_mul_f32_e32 v96, 0x3f6eb680, v96
	v_mul_f32_e32 v97, 0x3f6eb680, v97
	v_add_f32_e32 v67, v70, v67
	v_add_f32_e32 v70, v189, v77
	v_add_f32_e32 v59, v73, v59
	v_sub_f32_e32 v73, v76, v178
	;; [unrolled: 18-line block ×3, first 2 shown]
	v_add_f32_e32 v67, v70, v67
	v_add_f32_e32 v70, v187, v101
	v_mul_f32_e32 v69, 0x3f3d2fb0, v105
	v_add_f32_e32 v59, v73, v59
	v_sub_f32_e32 v73, v100, v180
	v_add_f32_e32 v67, v70, v67
	v_mul_f32_e32 v70, 0x3f3d2fb0, v106
	v_add_f32_e32 v59, v73, v59
	v_sub_f32_e32 v69, v69, v181
	v_add_f32_e32 v70, v186, v70
	v_add_f32_e32 v59, v69, v59
	v_mul_f32_e32 v69, 0xbe8c1d8e, v119
	v_add_f32_e32 v67, v70, v67
	v_mul_f32_e32 v70, 0xbe8c1d8e, v123
	v_sub_f32_e32 v69, v69, v182
	v_add_f32_e32 v70, v185, v70
	v_add_f32_e32 v69, v69, v59
	;; [unrolled: 1-line block ×12, first 2 shown]
	v_mul_f32_e32 v189, 0xbf59a7d5, v106
	v_mul_f32_e32 v188, 0x3ee437d1, v106
	;; [unrolled: 1-line block ×6, first 2 shown]
	v_add_f32_e32 v59, v67, v59
	v_add_f32_e32 v67, v174, v74
	buffer_store_dword v90, off, s[20:23], 0 ; 4-byte Folded Spill
	v_mul_f32_e32 v190, 0xbf59a7d5, v105
	v_mul_f32_e32 v255, 0x3ee437d1, v105
	;; [unrolled: 1-line block ×13, first 2 shown]
	v_add_f32_e32 v59, v67, v59
	v_add_f32_e32 v67, v175, v106
	v_add_f32_e32 v59, v67, v59
	v_add_f32_e32 v67, v176, v119
	v_add_f32_e32 v74, v67, v59
	v_sub_f32_e32 v59, v196, v161
	v_add_f32_e32 v59, v59, v4
	v_sub_f32_e32 v67, v208, v162
	v_add_f32_e32 v59, v67, v59
	v_sub_f32_e32 v67, v220, v163
	v_add_f32_e32 v59, v67, v59
	v_sub_f32_e32 v67, v232, v164
	v_add_f32_e32 v59, v67, v59
	v_sub_f32_e32 v67, v244, v165
	v_add_f32_e32 v59, v67, v59
	v_sub_f32_e32 v67, v254, v168
	v_add_f32_e32 v59, v67, v59
	v_sub_f32_e32 v67, v184, v170
	v_add_f32_e32 v59, v67, v59
	v_sub_f32_e32 v67, v73, v172
	v_add_f32_e32 v73, v67, v59
	v_add_f32_e32 v59, v150, v195
	v_add_f32_e32 v59, v59, v5
	v_add_f32_e32 v67, v151, v207
	v_add_f32_e32 v59, v67, v59
	v_add_f32_e32 v67, v153, v219
	v_add_f32_e32 v59, v67, v59
	v_add_f32_e32 v67, v155, v231
	v_add_f32_e32 v59, v67, v59
	v_add_f32_e32 v67, v157, v243
	v_add_f32_e32 v59, v67, v59
	v_add_f32_e32 v67, v158, v192
	v_mul_f32_e32 v180, 0xbf1a4643, v123
	v_add_f32_e32 v59, v67, v59
	v_add_f32_e32 v67, v159, v77
	v_add_f32_e32 v59, v67, v59
	v_add_f32_e32 v67, v160, v180
	v_add_f32_e32 v77, v67, v59
	v_sub_f32_e32 v59, v194, v145
	v_add_f32_e32 v59, v59, v4
	v_sub_f32_e32 v67, v206, v146
	v_add_f32_e32 v59, v67, v59
	v_sub_f32_e32 v67, v218, v147
	v_add_f32_e32 v59, v67, v59
	v_sub_f32_e32 v67, v230, v148
	v_add_f32_e32 v59, v67, v59
	v_sub_f32_e32 v67, v242, v149
	v_add_f32_e32 v59, v67, v59
	v_sub_f32_e32 v67, v191, v152
	v_add_f32_e32 v59, v67, v59
	v_sub_f32_e32 v67, v183, v154
	v_add_f32_e32 v59, v67, v59
	v_sub_f32_e32 v67, v76, v156
	v_add_f32_e32 v76, v67, v59
	v_add_f32_e32 v59, v132, v193
	v_add_f32_e32 v59, v59, v5
	v_add_f32_e32 v67, v133, v205
	v_add_f32_e32 v59, v67, v59
	v_add_f32_e32 v67, v135, v217
	v_add_f32_e32 v59, v67, v59
	v_add_f32_e32 v67, v137, v229
	v_add_f32_e32 v59, v67, v59
	v_add_f32_e32 v67, v139, v241
	v_add_f32_e32 v59, v67, v59
	v_add_f32_e32 v67, v140, v253
	v_mul_f32_e32 v100, 0x3f3d2fb0, v123
	;; [unrolled: 33-line block ×3, first 2 shown]
	v_add_f32_e32 v59, v67, v59
	v_add_f32_e32 v67, v122, v101
	;; [unrolled: 1-line block ×5, first 2 shown]
	v_sub_f32_e32 v59, v130, v103
	v_add_f32_e32 v59, v59, v4
	v_sub_f32_e32 v67, v202, v104
	v_add_f32_e32 v59, v67, v59
	;; [unrolled: 2-line block ×8, first 2 shown]
	v_add_f32_e32 v67, v84, v47
	buffer_load_dword v47, off, s[20:23], 0 ; 4-byte Folded Reload
	v_add_f32_e32 v59, v83, v128
	v_add_f32_e32 v59, v59, v5
	;; [unrolled: 1-line block ×10, first 2 shown]
	v_mul_f32_e32 v185, 0x3f6eb680, v123
	v_add_f32_e32 v59, v67, v59
	v_add_f32_e32 v67, v98, v188
	;; [unrolled: 1-line block ×5, first 2 shown]
	v_sub_f32_e32 v59, v121, v78
	v_add_f32_e32 v48, v48, v118
	v_add_f32_e32 v59, v59, v4
	;; [unrolled: 1-line block ×13, first 2 shown]
	v_sub_f32_e32 v67, v200, v79
	v_add_f32_e32 v48, v50, v48
	v_add_f32_e32 v50, v52, v211
	v_add_f32_e32 v5, v9, v5
	v_add_f32_e32 v59, v67, v59
	v_sub_f32_e32 v67, v212, v80
	v_add_f32_e32 v48, v50, v48
	v_add_f32_e32 v50, v54, v223
	v_add_f32_e32 v5, v11, v5
	v_add_f32_e32 v59, v67, v59
	;; [unrolled: 5-line block ×3, first 2 shown]
	v_sub_f32_e32 v67, v236, v82
	v_add_f32_e32 v48, v50, v48
	v_add_f32_e32 v50, v58, v247
	v_add_f32_e32 v5, v27, v5
	v_mul_f32_e32 v177, 0xbf7ba420, v123
	v_add_f32_e32 v59, v67, v59
	v_sub_f32_e32 v67, v248, v85
	v_add_f32_e32 v48, v50, v48
	v_add_f32_e32 v50, v71, v189
	v_add_f32_e32 v5, v33, v5
	v_add_f32_e32 v59, v67, v59
	v_sub_f32_e32 v67, v255, v91
	v_add_f32_e32 v48, v50, v48
	v_add_f32_e32 v50, v75, v177
	v_add_f32_e32 v5, v35, v5
	;; [unrolled: 5-line block ×3, first 2 shown]
	s_waitcnt vmcnt(0)
	v_sub_f32_e32 v47, v47, v49
	v_add_f32_e32 v47, v47, v4
	v_add_f32_e32 v4, v6, v4
	;; [unrolled: 1-line block ×9, first 2 shown]
	v_sub_f32_e32 v49, v198, v51
	v_add_f32_e32 v4, v30, v4
	v_add_f32_e32 v47, v49, v47
	v_sub_f32_e32 v49, v210, v53
	v_add_f32_e32 v4, v8, v4
	v_add_f32_e32 v47, v49, v47
	;; [unrolled: 3-line block ×7, first 2 shown]
	v_add_f32_e32 v4, v44, v4
	v_add_lshl_u32 v6, v46, v201, 3
	ds_write2_b64 v6, v[4:5], v[47:48] offset1:1
	ds_write2_b64 v6, v[82:83], v[100:101] offset0:2 offset1:3
	ds_write2_b64 v6, v[96:97], v[76:77] offset0:4 offset1:5
	ds_write2_b64 v6, v[73:74], v[69:70] offset0:6 offset1:7
	ds_write2_b64 v6, v[40:41], v[42:43] offset0:8 offset1:9
	ds_write2_b64 v6, v[36:37], v[38:39] offset0:10 offset1:11
	ds_write2_b64 v6, v[65:66], v[63:64] offset0:12 offset1:13
	ds_write2_b64 v6, v[61:62], v[0:1] offset0:14 offset1:15
	ds_write_b64 v6, v[2:3] offset:128
.LBB0_7:
	s_or_b64 exec, exec, s[0:1]
	v_add_lshl_u32 v91, v46, v87, 3
	v_add_u32_e32 v4, 0x800, v91
	s_waitcnt lgkmcnt(0)
	s_barrier
	ds_read2_b64 v[16:19], v91 offset1:68
	ds_read2_b64 v[20:23], v91 offset0:187 offset1:255
	ds_read2_b64 v[24:27], v4 offset0:118 offset1:186
	v_add_u32_e32 v4, 0x1000, v91
	ds_read2_b64 v[28:31], v4 offset0:49 offset1:117
	v_cmp_gt_u16_e64 s[0:1], 51, v87
	s_and_saveexec_b64 s[4:5], s[0:1]
	s_cbranch_execz .LBB0_9
; %bb.8:
	v_add_u32_e32 v4, 0x400, v91
	ds_read2_b64 v[40:43], v4 offset0:8 offset1:195
	v_add_u32_e32 v4, 0xe00, v91
	ds_read2_b64 v[36:39], v4 offset0:62 offset1:249
.LBB0_9:
	s_or_b64 exec, exec, s[4:5]
	s_movk_i32 s8, 0xf1
	v_mul_lo_u16_sdwa v4, v87, s8 dst_sel:DWORD dst_unused:UNUSED_PAD src0_sel:BYTE_0 src1_sel:DWORD
	v_lshrrev_b16_e32 v44, 12, v4
	v_add_u16_e32 v6, 0x44, v87
	v_mul_lo_u16_e32 v4, 17, v44
	v_mul_lo_u16_sdwa v7, v6, s8 dst_sel:DWORD dst_unused:UNUSED_PAD src0_sel:BYTE_0 src1_sel:DWORD
	v_sub_u16_e32 v4, v87, v4
	v_lshrrev_b16_e32 v47, 12, v7
	v_and_b32_e32 v45, 0xff, v4
	v_mul_lo_u16_e32 v7, 17, v47
	v_mad_u64_u32 v[4:5], s[4:5], v45, 24, s[2:3]
	v_sub_u16_e32 v6, v6, v7
	v_and_b32_e32 v48, 0xff, v6
	v_mad_u64_u32 v[32:33], s[4:5], v48, 24, s[2:3]
	global_load_dwordx2 v[69:70], v[4:5], off offset:16
	global_load_dwordx4 v[12:15], v[4:5], off
	global_load_dwordx4 v[8:11], v[32:33], off
	v_add_u16_e32 v4, 0x88, v87
	v_mul_lo_u16_sdwa v5, v4, s8 dst_sel:DWORD dst_unused:UNUSED_PAD src0_sel:BYTE_0 src1_sel:DWORD
	v_lshrrev_b16_e32 v92, 12, v5
	v_mul_lo_u16_e32 v5, 17, v92
	v_sub_u16_e32 v4, v4, v5
	v_and_b32_e32 v93, 0xff, v4
	v_mad_u64_u32 v[34:35], s[4:5], v93, 24, s[2:3]
	global_load_dwordx2 v[71:72], v[32:33], off offset:16
	global_load_dwordx4 v[4:7], v[34:35], off
	global_load_dwordx2 v[67:68], v[34:35], off offset:16
	s_load_dwordx4 s[4:7], s[6:7], 0x0
	s_waitcnt vmcnt(0) lgkmcnt(0)
	s_barrier
	v_mul_f32_e32 v50, v29, v70
	v_mul_f32_e32 v33, v21, v13
	;; [unrolled: 1-line block ×8, first 2 shown]
	v_fma_f32 v33, v20, v12, -v33
	v_fmac_f32_e32 v34, v21, v12
	v_mul_f32_e32 v56, v31, v72
	v_fma_f32 v21, v24, v14, -v35
	v_fma_f32 v24, v28, v69, -v50
	v_mul_f32_e32 v51, v28, v70
	v_mul_f32_e32 v54, v27, v11
	v_mul_f32_e32 v58, v43, v5
	v_fmac_f32_e32 v49, v25, v14
	v_fma_f32 v25, v22, v8, -v52
	v_fmac_f32_e32 v53, v23, v8
	v_fmac_f32_e32 v55, v27, v10
	v_fma_f32 v23, v30, v71, -v56
	v_sub_f32_e32 v27, v16, v21
	v_sub_f32_e32 v24, v33, v24
	v_mul_f32_e32 v57, v30, v72
	v_mul_f32_e32 v32, v42, v5
	;; [unrolled: 1-line block ×3, first 2 shown]
	v_fmac_f32_e32 v51, v29, v69
	v_fma_f32 v22, v26, v10, -v54
	v_fma_f32 v20, v42, v4, -v58
	v_sub_f32_e32 v28, v17, v49
	v_sub_f32_e32 v42, v25, v23
	v_fma_f32 v16, v16, 2.0, -v27
	v_fma_f32 v26, v33, 2.0, -v24
	v_mul_f32_e32 v73, v36, v7
	v_fmac_f32_e32 v57, v31, v71
	v_fma_f32 v31, v36, v6, -v59
	v_sub_f32_e32 v21, v34, v51
	v_sub_f32_e32 v36, v18, v22
	v_add_f32_e32 v22, v28, v24
	v_fma_f32 v24, v25, 2.0, -v42
	v_sub_f32_e32 v25, v16, v26
	v_fma_f32 v17, v17, 2.0, -v28
	v_fma_f32 v29, v34, 2.0, -v21
	;; [unrolled: 1-line block ×3, first 2 shown]
	v_sub_f32_e32 v16, v40, v31
	v_mul_u32_u24_e32 v31, 0x44, v44
	v_fmac_f32_e32 v73, v37, v6
	v_sub_f32_e32 v37, v19, v55
	v_sub_f32_e32 v23, v53, v57
	;; [unrolled: 1-line block ×4, first 2 shown]
	v_add_u32_e32 v31, v31, v45
	v_mul_f32_e32 v74, v39, v68
	v_mul_f32_e32 v75, v38, v68
	v_fma_f32 v18, v18, 2.0, -v36
	v_fma_f32 v19, v19, 2.0, -v37
	;; [unrolled: 1-line block ×6, first 2 shown]
	v_add_lshl_u32 v95, v46, v31, 3
	v_fmac_f32_e32 v32, v43, v4
	v_fma_f32 v35, v38, v67, -v74
	v_fmac_f32_e32 v75, v39, v67
	v_sub_f32_e32 v29, v18, v24
	v_sub_f32_e32 v30, v19, v30
	ds_write2_b64 v95, v[33:34], v[27:28] offset1:17
	ds_write2_b64 v95, v[25:26], v[21:22] offset0:34 offset1:51
	v_mul_u32_u24_e32 v21, 0x44, v47
	v_sub_f32_e32 v23, v36, v23
	v_fma_f32 v38, v18, 2.0, -v29
	v_fma_f32 v39, v19, 2.0, -v30
	v_add_f32_e32 v24, v37, v42
	v_sub_f32_e32 v18, v41, v73
	v_sub_f32_e32 v17, v20, v35
	;; [unrolled: 1-line block ×3, first 2 shown]
	v_add_u32_e32 v21, v21, v48
	v_fma_f32 v42, v36, 2.0, -v23
	v_fma_f32 v43, v37, 2.0, -v24
	v_sub_f32_e32 v36, v16, v19
	v_add_f32_e32 v37, v18, v17
	v_add_lshl_u32 v96, v46, v21, 3
	ds_write2_b64 v96, v[38:39], v[42:43] offset1:17
	ds_write2_b64 v96, v[29:30], v[23:24] offset0:34 offset1:51
	s_and_saveexec_b64 s[8:9], s[0:1]
	s_cbranch_execz .LBB0_11
; %bb.10:
	v_fma_f32 v22, v18, 2.0, -v37
	v_fma_f32 v21, v16, 2.0, -v36
	;; [unrolled: 1-line block ×6, first 2 shown]
	v_sub_f32_e32 v18, v23, v18
	v_sub_f32_e32 v17, v16, v17
	v_fma_f32 v24, v23, 2.0, -v18
	v_fma_f32 v23, v16, 2.0, -v17
	v_mul_u32_u24_e32 v16, 0x44, v92
	v_add_u32_e32 v16, v16, v93
	v_add_lshl_u32 v16, v46, v16, 3
	ds_write2_b64 v16, v[23:24], v[21:22] offset1:17
	ds_write2_b64 v16, v[17:18], v[36:37] offset0:34 offset1:51
.LBB0_11:
	s_or_b64 exec, exec, s[8:9]
	v_mov_b32_e32 v17, s3
	s_movk_i32 s8, 0x50
	v_mov_b32_e32 v16, s2
	v_mad_u64_u32 v[38:39], s[2:3], v87, s8, v[16:17]
	s_waitcnt lgkmcnt(0)
	s_barrier
	global_load_dwordx4 v[28:31], v[38:39], off offset:408
	global_load_dwordx4 v[24:27], v[38:39], off offset:424
	;; [unrolled: 1-line block ×5, first 2 shown]
	ds_read2_b64 v[38:41], v91 offset1:68
	ds_read2_b64 v[42:45], v91 offset0:136 offset1:204
	v_add_u32_e32 v50, 0x800, v91
	v_add_u32_e32 v54, 0x1000, v91
	ds_read_b64 v[58:59], v91 offset:5440
	ds_read2_b64 v[46:49], v50 offset0:16 offset1:84
	ds_read2_b64 v[50:53], v50 offset0:152 offset1:220
	;; [unrolled: 1-line block ×3, first 2 shown]
	s_mov_b32 s2, 0x3f575c64
	s_mov_b32 s3, 0x3ed4b147
	;; [unrolled: 1-line block ×5, first 2 shown]
	s_movk_i32 s16, 0x1000
	s_waitcnt vmcnt(4) lgkmcnt(5)
	v_mul_f32_e32 v74, v40, v29
	s_waitcnt lgkmcnt(4)
	v_mul_f32_e32 v76, v42, v31
	s_waitcnt vmcnt(2) lgkmcnt(1)
	v_mul_f32_e32 v84, v50, v23
	v_fmac_f32_e32 v74, v41, v28
	v_mul_f32_e32 v78, v44, v25
	v_mul_f32_e32 v83, v51, v23
	v_fmac_f32_e32 v76, v43, v30
	v_fmac_f32_e32 v84, v51, v22
	v_add_f32_e32 v51, v39, v74
	v_mul_f32_e32 v73, v41, v29
	v_mul_f32_e32 v80, v46, v27
	v_fmac_f32_e32 v78, v45, v24
	v_add_f32_e32 v51, v51, v76
	v_mul_f32_e32 v75, v43, v31
	v_mul_f32_e32 v82, v48, v21
	v_fma_f32 v40, v40, v28, -v73
	v_fmac_f32_e32 v80, v47, v26
	v_add_f32_e32 v51, v51, v78
	v_mul_f32_e32 v77, v45, v25
	v_fma_f32 v41, v42, v30, -v75
	v_fmac_f32_e32 v82, v49, v20
	v_fma_f32 v45, v50, v22, -v83
	v_add_f32_e32 v50, v38, v40
	v_add_f32_e32 v51, v51, v80
	v_mul_f32_e32 v79, v47, v27
	s_waitcnt vmcnt(1)
	v_mul_f32_e32 v86, v52, v17
	v_fma_f32 v42, v44, v24, -v77
	v_add_f32_e32 v50, v50, v41
	v_add_f32_e32 v51, v51, v82
	v_mul_f32_e32 v81, v49, v21
	s_waitcnt lgkmcnt(0)
	v_mul_f32_e32 v94, v54, v19
	v_fma_f32 v43, v46, v26, -v79
	v_fmac_f32_e32 v86, v53, v16
	v_add_f32_e32 v50, v50, v42
	v_add_f32_e32 v51, v51, v84
	s_waitcnt vmcnt(0)
	v_mul_f32_e32 v98, v56, v33
	v_mul_f32_e32 v99, v59, v35
	v_fma_f32 v44, v48, v20, -v81
	v_fmac_f32_e32 v94, v55, v18
	v_add_f32_e32 v50, v50, v43
	v_add_f32_e32 v51, v51, v86
	v_mul_f32_e32 v85, v53, v17
	v_mul_f32_e32 v100, v58, v35
	v_fmac_f32_e32 v98, v57, v32
	v_fma_f32 v49, v58, v34, -v99
	v_add_f32_e32 v50, v50, v44
	v_add_f32_e32 v51, v51, v94
	v_mul_f32_e32 v90, v55, v19
	v_mul_f32_e32 v97, v57, v33
	v_fma_f32 v46, v52, v16, -v85
	v_fmac_f32_e32 v100, v59, v34
	v_add_f32_e32 v52, v40, v49
	v_sub_f32_e32 v40, v40, v49
	v_add_f32_e32 v50, v50, v45
	v_add_f32_e32 v51, v51, v98
	v_fma_f32 v47, v54, v18, -v90
	v_fma_f32 v48, v56, v32, -v97
	v_add_f32_e32 v53, v74, v100
	v_sub_f32_e32 v54, v74, v100
	v_mul_f32_e32 v56, 0xbf0a6770, v40
	v_add_f32_e32 v50, v50, v46
	v_add_f32_e32 v74, v51, v100
	v_mul_f32_e32 v51, 0xbf68dda4, v40
	v_mul_f32_e32 v79, 0xbf7d64f0, v40
	;; [unrolled: 1-line block ×4, first 2 shown]
	v_mov_b32_e32 v58, v56
	v_add_f32_e32 v50, v50, v47
	v_mov_b32_e32 v59, v51
	v_mov_b32_e32 v81, v79
	;; [unrolled: 1-line block ×4, first 2 shown]
	v_fma_f32 v56, v53, s2, -v56
	v_fmac_f32_e32 v58, 0x3f575c64, v53
	v_add_f32_e32 v50, v50, v48
	v_fmac_f32_e32 v59, 0x3ed4b147, v53
	v_fma_f32 v51, v53, s3, -v51
	v_fmac_f32_e32 v81, 0xbe11bafb, v53
	v_fma_f32 v79, v53, s8, -v79
	;; [unrolled: 2-line block ×4, first 2 shown]
	v_mul_f32_e32 v55, 0xbf0a6770, v54
	v_add_f32_e32 v56, v39, v56
	v_add_f32_e32 v58, v39, v58
	;; [unrolled: 1-line block ×3, first 2 shown]
	v_mul_f32_e32 v49, 0xbf68dda4, v54
	v_add_f32_e32 v59, v39, v59
	v_add_f32_e32 v51, v39, v51
	v_mul_f32_e32 v75, 0xbf7d64f0, v54
	v_add_f32_e32 v81, v39, v81
	v_add_f32_e32 v79, v39, v79
	;; [unrolled: 3-line block ×4, first 2 shown]
	v_add_f32_e32 v40, v41, v48
	v_sub_f32_e32 v41, v41, v48
	v_sub_f32_e32 v48, v76, v98
	v_fma_f32 v57, v52, s2, -v55
	v_fmac_f32_e32 v55, 0x3f575c64, v52
	v_fma_f32 v50, v52, s3, -v49
	v_fmac_f32_e32 v49, 0x3ed4b147, v52
	;; [unrolled: 2-line block ×5, first 2 shown]
	v_mul_f32_e32 v53, 0xbf68dda4, v48
	v_add_f32_e32 v57, v38, v57
	v_add_f32_e32 v55, v38, v55
	;; [unrolled: 1-line block ×10, first 2 shown]
	v_fma_f32 v54, v40, s3, -v53
	v_add_f32_e32 v52, v76, v98
	v_add_f32_e32 v54, v54, v57
	v_mul_f32_e32 v57, 0xbf68dda4, v41
	v_fmac_f32_e32 v53, 0x3ed4b147, v40
	v_add_f32_e32 v53, v53, v55
	v_fma_f32 v55, v52, s3, -v57
	v_add_f32_e32 v55, v55, v56
	v_mul_f32_e32 v56, 0xbf4178ce, v48
	v_mov_b32_e32 v76, v57
	v_fma_f32 v57, v40, s9, -v56
	v_fmac_f32_e32 v76, 0x3ed4b147, v52
	v_add_f32_e32 v50, v57, v50
	v_mul_f32_e32 v57, 0xbf4178ce, v41
	v_fmac_f32_e32 v56, 0xbf27a4f4, v40
	v_add_f32_e32 v58, v76, v58
	v_mov_b32_e32 v76, v57
	v_add_f32_e32 v49, v56, v49
	v_fma_f32 v56, v52, s9, -v57
	v_fmac_f32_e32 v76, 0xbf27a4f4, v52
	v_add_f32_e32 v51, v56, v51
	v_mul_f32_e32 v56, 0x3e903f40, v48
	v_add_f32_e32 v59, v76, v59
	v_fma_f32 v57, v40, s10, -v56
	v_mul_f32_e32 v76, 0x3e903f40, v41
	v_add_f32_e32 v57, v57, v77
	v_mov_b32_e32 v77, v76
	v_fmac_f32_e32 v56, 0xbf75a155, v40
	v_fmac_f32_e32 v77, 0xbf75a155, v52
	v_add_f32_e32 v56, v56, v75
	v_fma_f32 v75, v52, s10, -v76
	v_mul_f32_e32 v76, 0x3f7d64f0, v48
	v_add_f32_e32 v77, v77, v81
	v_add_f32_e32 v75, v75, v79
	v_fma_f32 v79, v40, s8, -v76
	v_mul_f32_e32 v81, 0x3f7d64f0, v41
	v_fmac_f32_e32 v76, 0xbe11bafb, v40
	v_mul_f32_e32 v48, 0x3f0a6770, v48
	v_mul_f32_e32 v41, 0x3f0a6770, v41
	v_add_f32_e32 v76, v76, v83
	v_fma_f32 v83, v40, s2, -v48
	v_fmac_f32_e32 v48, 0x3f575c64, v40
	v_fma_f32 v40, v52, s2, -v41
	v_add_f32_e32 v79, v79, v85
	v_mov_b32_e32 v85, v81
	v_fma_f32 v81, v52, s8, -v81
	v_add_f32_e32 v39, v40, v39
	v_add_f32_e32 v40, v42, v47
	v_sub_f32_e32 v42, v42, v47
	v_sub_f32_e32 v47, v78, v94
	v_add_f32_e32 v81, v81, v90
	v_mov_b32_e32 v90, v41
	v_add_f32_e32 v38, v48, v38
	v_mul_f32_e32 v48, 0xbf7d64f0, v47
	v_fmac_f32_e32 v85, 0xbe11bafb, v52
	v_fmac_f32_e32 v90, 0x3f575c64, v52
	v_fma_f32 v52, v40, s8, -v48
	v_add_f32_e32 v41, v78, v94
	v_add_f32_e32 v52, v52, v54
	v_mul_f32_e32 v54, 0xbf7d64f0, v42
	v_fmac_f32_e32 v48, 0xbe11bafb, v40
	v_mov_b32_e32 v78, v54
	v_add_f32_e32 v48, v48, v53
	v_fma_f32 v53, v41, s8, -v54
	v_mul_f32_e32 v54, 0x3e903f40, v47
	v_add_f32_e32 v53, v53, v55
	v_fma_f32 v55, v40, s10, -v54
	v_add_f32_e32 v50, v55, v50
	v_mul_f32_e32 v55, 0x3e903f40, v42
	v_fmac_f32_e32 v54, 0xbf75a155, v40
	v_add_f32_e32 v49, v54, v49
	v_fma_f32 v54, v41, s10, -v55
	v_fmac_f32_e32 v78, 0xbe11bafb, v41
	v_add_f32_e32 v51, v54, v51
	v_mul_f32_e32 v54, 0x3f68dda4, v47
	v_add_f32_e32 v58, v78, v58
	v_mov_b32_e32 v78, v55
	v_fma_f32 v55, v40, s3, -v54
	v_fmac_f32_e32 v78, 0xbf75a155, v41
	v_add_f32_e32 v55, v55, v57
	v_mul_f32_e32 v57, 0x3f68dda4, v42
	v_add_f32_e32 v59, v78, v59
	v_mov_b32_e32 v78, v57
	v_fmac_f32_e32 v54, 0x3ed4b147, v40
	v_fmac_f32_e32 v78, 0x3ed4b147, v41
	v_add_f32_e32 v54, v54, v56
	v_fma_f32 v56, v41, s3, -v57
	v_mul_f32_e32 v57, 0xbf0a6770, v47
	v_add_f32_e32 v77, v78, v77
	v_add_f32_e32 v56, v56, v75
	v_fma_f32 v75, v40, s2, -v57
	v_mul_f32_e32 v78, 0xbf0a6770, v42
	v_fmac_f32_e32 v57, 0x3f575c64, v40
	v_mul_f32_e32 v47, 0xbf4178ce, v47
	v_mul_f32_e32 v42, 0xbf4178ce, v42
	v_add_f32_e32 v75, v75, v79
	v_mov_b32_e32 v79, v78
	v_add_f32_e32 v57, v57, v76
	v_fma_f32 v76, v41, s2, -v78
	v_fma_f32 v78, v40, s9, -v47
	v_fmac_f32_e32 v47, 0xbf27a4f4, v40
	v_fma_f32 v40, v41, s9, -v42
	v_add_f32_e32 v76, v76, v81
	v_mov_b32_e32 v81, v42
	v_add_f32_e32 v39, v40, v39
	v_add_f32_e32 v40, v43, v46
	v_sub_f32_e32 v42, v43, v46
	v_sub_f32_e32 v43, v80, v86
	v_mul_f32_e32 v46, 0xbf4178ce, v43
	v_add_f32_e32 v38, v47, v38
	v_fma_f32 v47, v40, s9, -v46
	v_fmac_f32_e32 v79, 0x3f575c64, v41
	v_fmac_f32_e32 v81, 0xbf27a4f4, v41
	v_add_f32_e32 v41, v80, v86
	v_add_f32_e32 v47, v47, v52
	v_mul_f32_e32 v52, 0xbf4178ce, v42
	v_fmac_f32_e32 v46, 0xbf27a4f4, v40
	v_mov_b32_e32 v80, v52
	v_add_f32_e32 v46, v46, v48
	v_fma_f32 v48, v41, s9, -v52
	v_mul_f32_e32 v52, 0x3f7d64f0, v43
	v_add_f32_e32 v48, v48, v53
	v_fma_f32 v53, v40, s8, -v52
	v_fmac_f32_e32 v80, 0xbf27a4f4, v41
	v_add_f32_e32 v53, v53, v50
	v_mul_f32_e32 v50, 0x3f7d64f0, v42
	v_add_f32_e32 v58, v80, v58
	v_mov_b32_e32 v80, v50
	v_fmac_f32_e32 v52, 0xbe11bafb, v40
	v_fma_f32 v50, v41, s8, -v50
	v_add_f32_e32 v49, v52, v49
	v_add_f32_e32 v52, v50, v51
	v_mul_f32_e32 v50, 0xbf0a6770, v43
	v_fma_f32 v51, v40, s2, -v50
	v_add_f32_e32 v55, v51, v55
	v_mul_f32_e32 v51, 0xbf0a6770, v42
	v_fmac_f32_e32 v50, 0x3f575c64, v40
	v_add_f32_e32 v54, v50, v54
	v_fma_f32 v50, v41, s2, -v51
	v_fmac_f32_e32 v80, 0xbe11bafb, v41
	v_add_f32_e32 v56, v50, v56
	v_mul_f32_e32 v50, 0xbe903f40, v43
	v_add_f32_e32 v59, v80, v59
	v_mov_b32_e32 v80, v51
	v_fma_f32 v51, v40, s10, -v50
	v_add_f32_e32 v75, v51, v75
	v_mul_f32_e32 v51, 0xbe903f40, v42
	v_fmac_f32_e32 v50, 0xbf75a155, v40
	v_add_f32_e32 v83, v83, v99
	v_add_f32_e32 v57, v50, v57
	v_fma_f32 v50, v41, s10, -v51
	v_mul_f32_e32 v43, 0x3f68dda4, v43
	v_add_f32_e32 v78, v78, v83
	v_fmac_f32_e32 v80, 0x3f575c64, v41
	v_add_f32_e32 v76, v50, v76
	v_fma_f32 v50, v40, s3, -v43
	v_mul_f32_e32 v42, 0x3f68dda4, v42
	v_add_f32_e32 v85, v85, v97
	v_add_f32_e32 v90, v90, v100
	;; [unrolled: 1-line block ×3, first 2 shown]
	v_mov_b32_e32 v80, v51
	v_add_f32_e32 v78, v50, v78
	v_mov_b32_e32 v50, v42
	v_add_f32_e32 v79, v79, v85
	v_add_f32_e32 v81, v81, v90
	v_fmac_f32_e32 v80, 0xbf75a155, v41
	v_fmac_f32_e32 v50, 0x3ed4b147, v41
	v_add_f32_e32 v83, v82, v84
	v_sub_f32_e32 v82, v82, v84
	v_add_f32_e32 v79, v80, v79
	v_add_f32_e32 v80, v50, v81
	v_fmac_f32_e32 v43, 0x3ed4b147, v40
	v_fma_f32 v40, v41, s3, -v42
	v_add_f32_e32 v81, v44, v45
	v_sub_f32_e32 v85, v44, v45
	v_mul_f32_e32 v42, 0xbe903f40, v82
	v_add_f32_e32 v38, v43, v38
	v_add_f32_e32 v39, v40, v39
	v_fma_f32 v40, v81, s10, -v42
	v_mul_f32_e32 v43, 0xbe903f40, v85
	v_fmac_f32_e32 v42, 0xbf75a155, v81
	v_add_f32_e32 v50, v42, v46
	v_fma_f32 v42, v83, s10, -v43
	v_mul_f32_e32 v44, 0x3f0a6770, v82
	v_add_f32_e32 v51, v42, v48
	v_fma_f32 v42, v81, s2, -v44
	v_mul_f32_e32 v45, 0x3f0a6770, v85
	v_fmac_f32_e32 v44, 0x3f575c64, v81
	v_add_f32_e32 v48, v44, v49
	v_fma_f32 v44, v83, s2, -v45
	v_mul_f32_e32 v46, 0xbf4178ce, v82
	v_add_f32_e32 v40, v40, v47
	v_mov_b32_e32 v41, v43
	v_mov_b32_e32 v43, v45
	v_add_f32_e32 v49, v44, v52
	v_fma_f32 v44, v81, s9, -v46
	v_mul_f32_e32 v47, 0xbf4178ce, v85
	v_fmac_f32_e32 v46, 0xbf27a4f4, v81
	v_fmac_f32_e32 v41, 0xbf75a155, v83
	;; [unrolled: 1-line block ×3, first 2 shown]
	v_add_f32_e32 v54, v46, v54
	v_fma_f32 v46, v83, s9, -v47
	v_mul_f32_e32 v52, 0x3f68dda4, v82
	v_add_f32_e32 v41, v41, v58
	v_add_f32_e32 v42, v42, v53
	;; [unrolled: 1-line block ×5, first 2 shown]
	v_fma_f32 v46, v81, s3, -v52
	v_mul_f32_e32 v53, 0x3f68dda4, v85
	v_fmac_f32_e32 v52, 0x3ed4b147, v81
	v_mul_f32_e32 v58, 0xbf7d64f0, v82
	v_mul_f32_e32 v59, 0xbf7d64f0, v85
	v_mov_b32_e32 v45, v47
	v_mov_b32_e32 v47, v53
	v_add_f32_e32 v52, v52, v57
	v_fma_f32 v56, v81, s8, -v58
	v_mov_b32_e32 v57, v59
	v_fmac_f32_e32 v58, 0xbe11bafb, v81
	v_fmac_f32_e32 v45, 0xbf27a4f4, v83
	;; [unrolled: 1-line block ×3, first 2 shown]
	v_fma_f32 v53, v83, s3, -v53
	v_fmac_f32_e32 v57, 0xbe11bafb, v83
	v_add_f32_e32 v58, v58, v38
	v_fma_f32 v38, v83, s8, -v59
	v_lshl_add_u32 v94, v87, 3, v89
	v_add_f32_e32 v45, v45, v77
	v_add_f32_e32 v46, v46, v75
	;; [unrolled: 1-line block ×7, first 2 shown]
	v_add_u32_e32 v39, 0x400, v94
	v_add_u32_e32 v75, 0x800, v94
	;; [unrolled: 1-line block ×4, first 2 shown]
	ds_write_b64 v94, v[73:74]
	ds_write2_b64 v94, v[40:41], v[42:43] offset0:68 offset1:136
	ds_write2_b64 v39, v[44:45], v[46:47] offset0:76 offset1:144
	;; [unrolled: 1-line block ×5, first 2 shown]
	s_waitcnt lgkmcnt(0)
	s_barrier
	s_and_saveexec_b64 s[8:9], vcc
	s_cbranch_execz .LBB0_13
; %bb.12:
	s_add_u32 s10, s12, 0x1760
	s_addc_u32 s11, s13, 0
	global_load_dwordx2 v[77:78], v88, s[10:11]
	global_load_dwordx2 v[85:86], v88, s[10:11] offset:352
	global_load_dwordx2 v[117:118], v88, s[10:11] offset:704
	;; [unrolled: 1-line block ×3, first 2 shown]
	v_mov_b32_e32 v79, s11
	v_add_co_u32_e64 v80, s[2:3], s10, v88
	v_addc_co_u32_e64 v81, s[2:3], 0, v79, s[2:3]
	global_load_dwordx2 v[121:122], v88, s[10:11] offset:1408
	global_load_dwordx2 v[123:124], v88, s[10:11] offset:1760
	global_load_dwordx2 v[125:126], v88, s[10:11] offset:2112
	global_load_dwordx2 v[127:128], v88, s[10:11] offset:2464
	global_load_dwordx2 v[129:130], v88, s[10:11] offset:2816
	global_load_dwordx2 v[131:132], v88, s[10:11] offset:3168
	global_load_dwordx2 v[133:134], v88, s[10:11] offset:3520
	global_load_dwordx2 v[135:136], v88, s[10:11] offset:3872
	v_add_co_u32_e64 v79, s[2:3], s16, v80
	v_addc_co_u32_e64 v80, s[2:3], 0, v81, s[2:3]
	global_load_dwordx2 v[137:138], v[79:80], off offset:128
	global_load_dwordx2 v[139:140], v[79:80], off offset:480
	;; [unrolled: 1-line block ×4, first 2 shown]
	v_or_b32_e32 v79, 0x1600, v88
	global_load_dwordx2 v[145:146], v79, s[10:11]
	ds_read_b64 v[81:82], v94
	s_waitcnt vmcnt(16) lgkmcnt(0)
	v_mul_f32_e32 v80, v82, v78
	v_mul_f32_e32 v79, v81, v78
	v_fma_f32 v78, v81, v77, -v80
	v_fmac_f32_e32 v79, v82, v77
	ds_write_b64 v94, v[78:79]
	ds_read2_b64 v[77:80], v94 offset0:44 offset1:88
	ds_read2_b64 v[81:84], v94 offset0:132 offset1:176
	;; [unrolled: 1-line block ×7, first 2 shown]
	s_waitcnt vmcnt(15) lgkmcnt(6)
	v_mul_f32_e32 v90, v78, v86
	v_mul_f32_e32 v148, v77, v86
	s_waitcnt vmcnt(14)
	v_mul_f32_e32 v149, v80, v118
	v_mul_f32_e32 v86, v79, v118
	s_waitcnt vmcnt(13) lgkmcnt(5)
	v_mul_f32_e32 v150, v82, v120
	v_mul_f32_e32 v118, v81, v120
	s_waitcnt vmcnt(12)
	v_mul_f32_e32 v151, v84, v122
	v_mul_f32_e32 v120, v83, v122
	;; [unrolled: 6-line block ×5, first 2 shown]
	s_waitcnt vmcnt(5) lgkmcnt(1)
	v_mul_f32_e32 v158, v110, v136
	v_mul_f32_e32 v134, v109, v136
	s_waitcnt vmcnt(4)
	v_mul_f32_e32 v136, v112, v138
	v_fma_f32 v147, v77, v85, -v90
	v_fmac_f32_e32 v148, v78, v85
	v_fma_f32 v85, v79, v117, -v149
	v_fmac_f32_e32 v86, v80, v117
	v_mul_f32_e32 v78, v111, v138
	v_fma_f32 v117, v81, v119, -v150
	v_fmac_f32_e32 v118, v82, v119
	v_fma_f32 v119, v83, v121, -v151
	v_fmac_f32_e32 v120, v84, v121
	;; [unrolled: 2-line block ×9, first 2 shown]
	v_fma_f32 v77, v111, v137, -v136
	ds_write2_b64 v94, v[147:148], v[85:86] offset0:44 offset1:88
	ds_write2_b64 v94, v[117:118], v[119:120] offset0:132 offset1:176
	;; [unrolled: 1-line block ×5, first 2 shown]
	v_fmac_f32_e32 v78, v112, v137
	ds_write2_b64 v76, v[133:134], v[77:78] offset0:100 offset1:144
	ds_read2_b64 v[75:78], v38 offset0:148 offset1:192
	s_waitcnt vmcnt(3) lgkmcnt(7)
	v_mul_f32_e32 v39, v114, v140
	v_fma_f32 v79, v113, v139, -v39
	v_mul_f32_e32 v80, v113, v140
	s_waitcnt vmcnt(2)
	v_mul_f32_e32 v39, v116, v142
	v_mul_f32_e32 v82, v115, v142
	v_fmac_f32_e32 v80, v114, v139
	v_fma_f32 v81, v115, v141, -v39
	v_fmac_f32_e32 v82, v116, v141
	ds_write2_b64 v38, v[79:80], v[81:82] offset0:60 offset1:104
	s_waitcnt vmcnt(1) lgkmcnt(1)
	v_mul_f32_e32 v39, v76, v144
	v_mul_f32_e32 v80, v75, v144
	v_fma_f32 v79, v75, v143, -v39
	v_fmac_f32_e32 v80, v76, v143
	s_waitcnt vmcnt(0)
	v_mul_f32_e32 v39, v78, v146
	v_mul_f32_e32 v76, v77, v146
	v_fma_f32 v75, v77, v145, -v39
	v_fmac_f32_e32 v76, v78, v145
	ds_write2_b64 v38, v[79:80], v[75:76] offset0:148 offset1:192
.LBB0_13:
	s_or_b64 exec, exec, s[8:9]
	s_waitcnt lgkmcnt(0)
	s_barrier
	s_and_saveexec_b64 s[2:3], vcc
	s_cbranch_execz .LBB0_15
; %bb.14:
	v_add_u32_e32 v0, 0x400, v94
	v_add_u32_e32 v1, 0xc00, v94
	ds_read_b64 v[73:74], v94
	ds_read2_b64 v[40:43], v94 offset0:44 offset1:88
	ds_read2_b64 v[44:47], v94 offset0:132 offset1:176
	;; [unrolled: 1-line block ×3, first 2 shown]
	v_add_u32_e32 v0, 0x800, v94
	ds_read2_b64 v[36:39], v1 offset0:100 offset1:144
	ds_read2_b64 v[52:55], v0 offset0:52 offset1:96
	v_add_u32_e32 v1, 0x1000, v94
	ds_read2_b64 v[75:78], v1 offset0:60 offset1:104
	ds_read2_b64 v[48:51], v0 offset0:140 offset1:184
	;; [unrolled: 1-line block ×3, first 2 shown]
	s_waitcnt lgkmcnt(4)
	v_mov_b32_e32 v65, v38
	v_mov_b32_e32 v66, v39
	s_waitcnt lgkmcnt(2)
	v_mov_b32_e32 v63, v75
	v_mov_b32_e32 v64, v76
	;; [unrolled: 1-line block ×4, first 2 shown]
.LBB0_15:
	s_or_b64 exec, exec, s[2:3]
	s_waitcnt lgkmcnt(0)
	v_sub_f32_e32 v113, v41, v3
	v_add_f32_e32 v97, v2, v40
	v_add_f32_e32 v114, v3, v41
	s_mov_b32 s8, 0xbf1a4643
	v_mul_f32_e32 v83, 0xbf4c4adb, v113
	v_mul_f32_e32 v84, 0xbf1a4643, v114
	v_fma_f32 v38, v97, s8, -v83
	v_sub_f32_e32 v115, v43, v1
	v_sub_f32_e32 v98, v40, v2
	v_add_f32_e32 v75, v73, v38
	v_mov_b32_e32 v38, v84
	v_add_f32_e32 v99, v0, v42
	v_add_f32_e32 v116, v1, v43
	s_mov_b32 s11, 0xbe8c1d8e
	v_mul_f32_e32 v85, 0x3f763a35, v115
	v_fmac_f32_e32 v38, 0xbf4c4adb, v98
	v_mul_f32_e32 v86, 0xbe8c1d8e, v116
	v_fma_f32 v90, v99, s11, -v85
	v_add_f32_e32 v76, v74, v38
	s_mov_b32 s9, 0xbf59a7d5
	v_mul_f32_e32 v38, 0xbf06c442, v113
	v_sub_f32_e32 v100, v42, v0
	v_add_f32_e32 v75, v90, v75
	v_mov_b32_e32 v90, v86
	v_mul_f32_e32 v39, 0xbf59a7d5, v114
	v_fma_f32 v77, v97, s9, -v38
	v_fmac_f32_e32 v90, 0x3f763a35, v100
	s_mov_b32 s16, 0x3ee437d1
	v_mul_f32_e32 v130, 0x3f65296c, v115
	v_add_f32_e32 v77, v73, v77
	v_mov_b32_e32 v78, v39
	v_add_f32_e32 v76, v90, v76
	v_mul_f32_e32 v132, 0x3ee437d1, v116
	v_fma_f32 v90, v99, s16, -v130
	v_fmac_f32_e32 v78, 0xbf06c442, v98
	v_add_f32_e32 v77, v90, v77
	v_mov_b32_e32 v90, v132
	v_add_f32_e32 v78, v74, v78
	v_mul_f32_e32 v79, 0xbe3c28d5, v113
	v_fmac_f32_e32 v90, 0x3f65296c, v100
	v_mov_b32_e32 v80, v79
	v_add_f32_e32 v78, v90, v78
	v_mul_f32_e32 v90, 0x3eb8f4ab, v115
	v_fmac_f32_e32 v80, 0xbf7ba420, v97
	;; [unrolled: 4-line block ×3, first 2 shown]
	s_mov_b32 s10, 0xbf7ba420
	v_mov_b32_e32 v82, v81
	v_fmac_f32_e32 v81, 0xbe3c28d5, v98
	v_add_f32_e32 v80, v101, v80
	v_mul_f32_e32 v101, 0x3f6eb680, v116
	v_fma_f32 v79, v97, s10, -v79
	v_add_f32_e32 v81, v74, v81
	s_mov_b32 s17, 0x3f6eb680
	v_mov_b32_e32 v102, v101
	v_fmac_f32_e32 v101, 0x3eb8f4ab, v100
	v_sub_f32_e32 v117, v45, v62
	v_fmac_f32_e32 v82, 0x3e3c28d5, v98
	v_add_f32_e32 v79, v73, v79
	v_fma_f32 v90, v99, s17, -v90
	v_add_f32_e32 v81, v101, v81
	v_add_f32_e32 v101, v61, v44
	;; [unrolled: 1-line block ×3, first 2 shown]
	v_mul_f32_e32 v129, 0xbeb8f4ab, v117
	v_add_f32_e32 v82, v74, v82
	v_fmac_f32_e32 v102, 0xbeb8f4ab, v100
	v_add_f32_e32 v79, v90, v79
	v_mul_f32_e32 v131, 0x3f6eb680, v119
	v_fma_f32 v90, v101, s17, -v129
	v_add_f32_e32 v82, v102, v82
	v_sub_f32_e32 v102, v44, v61
	v_add_f32_e32 v75, v90, v75
	v_mov_b32_e32 v90, v131
	v_fmac_f32_e32 v90, 0xbeb8f4ab, v102
	s_mov_b32 s18, 0x3dbcf732
	v_mul_f32_e32 v134, 0xbf7ee86f, v117
	v_add_f32_e32 v76, v90, v76
	v_mul_f32_e32 v136, 0x3dbcf732, v119
	v_fma_f32 v90, v101, s18, -v134
	v_add_f32_e32 v77, v90, v77
	v_mov_b32_e32 v90, v136
	v_fmac_f32_e32 v90, 0xbf7ee86f, v102
	v_add_f32_e32 v78, v90, v78
	v_mul_f32_e32 v90, 0xbf06c442, v117
	v_mov_b32_e32 v103, v90
	v_fmac_f32_e32 v103, 0xbf59a7d5, v101
	v_add_f32_e32 v80, v103, v80
	v_mul_f32_e32 v103, 0xbf59a7d5, v119
	v_mov_b32_e32 v104, v103
	v_fmac_f32_e32 v103, 0xbf06c442, v102
	v_sub_f32_e32 v118, v47, v64
	v_fma_f32 v90, v101, s9, -v90
	v_add_f32_e32 v81, v103, v81
	v_add_f32_e32 v103, v63, v46
	;; [unrolled: 1-line block ×3, first 2 shown]
	v_mul_f32_e32 v133, 0xbf06c442, v118
	v_fmac_f32_e32 v104, 0x3f06c442, v102
	v_add_f32_e32 v79, v90, v79
	v_mul_f32_e32 v135, 0xbf59a7d5, v121
	v_fma_f32 v90, v103, s9, -v133
	v_add_f32_e32 v82, v104, v82
	v_sub_f32_e32 v104, v46, v63
	v_add_f32_e32 v75, v90, v75
	v_mov_b32_e32 v90, v135
	v_fmac_f32_e32 v90, 0xbf06c442, v104
	v_mul_f32_e32 v138, 0x3f4c4adb, v118
	v_add_f32_e32 v76, v90, v76
	v_mul_f32_e32 v140, 0xbf1a4643, v121
	v_fma_f32 v90, v103, s8, -v138
	v_add_f32_e32 v77, v90, v77
	v_mov_b32_e32 v90, v140
	v_fmac_f32_e32 v90, 0x3f4c4adb, v104
	v_add_f32_e32 v78, v90, v78
	v_mul_f32_e32 v90, 0x3f2c7751, v118
	v_mov_b32_e32 v105, v90
	v_fmac_f32_e32 v105, 0x3f3d2fb0, v103
	v_add_f32_e32 v80, v105, v80
	v_mul_f32_e32 v105, 0x3f3d2fb0, v121
	s_mov_b32 s19, 0x3f3d2fb0
	v_mov_b32_e32 v106, v105
	v_fmac_f32_e32 v105, 0x3f2c7751, v104
	v_sub_f32_e32 v120, v57, v66
	v_fma_f32 v90, v103, s19, -v90
	v_add_f32_e32 v81, v105, v81
	v_add_f32_e32 v105, v65, v56
	;; [unrolled: 1-line block ×3, first 2 shown]
	v_mul_f32_e32 v137, 0x3f7ee86f, v120
	v_fmac_f32_e32 v106, 0xbf2c7751, v104
	v_add_f32_e32 v79, v90, v79
	v_mul_f32_e32 v139, 0x3dbcf732, v123
	v_fma_f32 v90, v105, s18, -v137
	v_add_f32_e32 v82, v106, v82
	v_sub_f32_e32 v106, v56, v65
	v_add_f32_e32 v75, v90, v75
	v_mov_b32_e32 v90, v139
	v_fmac_f32_e32 v90, 0x3f7ee86f, v106
	v_mul_f32_e32 v142, 0xbeb8f4ab, v120
	v_add_f32_e32 v76, v90, v76
	v_mul_f32_e32 v144, 0x3f6eb680, v123
	v_fma_f32 v90, v105, s17, -v142
	v_add_f32_e32 v77, v90, v77
	v_mov_b32_e32 v90, v144
	v_fmac_f32_e32 v90, 0xbeb8f4ab, v106
	v_add_f32_e32 v78, v90, v78
	v_mul_f32_e32 v90, 0xbf4c4adb, v120
	v_mov_b32_e32 v107, v90
	v_fmac_f32_e32 v107, 0xbf1a4643, v105
	v_add_f32_e32 v80, v107, v80
	v_mul_f32_e32 v107, 0xbf1a4643, v123
	v_mov_b32_e32 v108, v107
	v_fmac_f32_e32 v107, 0xbf4c4adb, v106
	v_sub_f32_e32 v122, v59, v37
	v_fma_f32 v90, v105, s8, -v90
	v_add_f32_e32 v81, v107, v81
	v_add_f32_e32 v107, v36, v58
	;; [unrolled: 1-line block ×3, first 2 shown]
	v_mul_f32_e32 v141, 0xbf2c7751, v122
	v_fmac_f32_e32 v108, 0x3f4c4adb, v106
	v_add_f32_e32 v79, v90, v79
	v_mul_f32_e32 v143, 0x3f3d2fb0, v125
	v_fma_f32 v90, v107, s19, -v141
	v_add_f32_e32 v82, v108, v82
	v_sub_f32_e32 v108, v58, v36
	v_add_f32_e32 v75, v90, v75
	v_mov_b32_e32 v90, v143
	v_fmac_f32_e32 v90, 0xbf2c7751, v108
	v_mul_f32_e32 v146, 0xbe3c28d5, v122
	v_add_f32_e32 v76, v90, v76
	v_mul_f32_e32 v148, 0xbf7ba420, v125
	v_fma_f32 v90, v107, s10, -v146
	v_add_f32_e32 v77, v90, v77
	v_mov_b32_e32 v90, v148
	v_fmac_f32_e32 v90, 0xbe3c28d5, v108
	v_add_f32_e32 v78, v90, v78
	v_mul_f32_e32 v90, 0x3f65296c, v122
	v_mov_b32_e32 v109, v90
	v_fmac_f32_e32 v109, 0x3ee437d1, v107
	v_add_f32_e32 v80, v109, v80
	v_mul_f32_e32 v109, 0x3ee437d1, v125
	v_mov_b32_e32 v110, v109
	v_fmac_f32_e32 v109, 0x3f65296c, v108
	v_sub_f32_e32 v124, v53, v51
	v_fma_f32 v90, v107, s16, -v90
	v_add_f32_e32 v81, v109, v81
	v_add_f32_e32 v109, v50, v52
	;; [unrolled: 1-line block ×3, first 2 shown]
	v_mul_f32_e32 v145, 0xbe3c28d5, v124
	v_fmac_f32_e32 v110, 0xbf65296c, v108
	v_add_f32_e32 v79, v90, v79
	v_mul_f32_e32 v147, 0xbf7ba420, v127
	v_fma_f32 v90, v109, s10, -v145
	v_add_f32_e32 v82, v110, v82
	v_sub_f32_e32 v110, v52, v50
	v_add_f32_e32 v75, v90, v75
	v_mov_b32_e32 v90, v147
	v_fmac_f32_e32 v90, 0xbe3c28d5, v110
	v_mul_f32_e32 v150, 0x3f2c7751, v124
	v_add_f32_e32 v76, v90, v76
	v_mul_f32_e32 v152, 0x3f3d2fb0, v127
	v_fma_f32 v90, v109, s19, -v150
	v_add_f32_e32 v90, v90, v77
	v_mov_b32_e32 v77, v152
	v_fmac_f32_e32 v77, 0x3f2c7751, v110
	v_add_f32_e32 v155, v77, v78
	v_mul_f32_e32 v77, 0xbf763a35, v124
	v_sub_f32_e32 v126, v55, v49
	v_mov_b32_e32 v78, v77
	v_fma_f32 v77, v109, s11, -v77
	v_add_f32_e32 v111, v48, v54
	v_add_f32_e32 v128, v49, v55
	v_mul_f32_e32 v149, 0x3f65296c, v126
	v_fmac_f32_e32 v78, 0xbe8c1d8e, v109
	v_add_f32_e32 v157, v77, v79
	v_mul_f32_e32 v151, 0x3ee437d1, v128
	v_fma_f32 v77, v111, s16, -v149
	v_add_f32_e32 v156, v78, v80
	v_mul_f32_e32 v78, 0xbe8c1d8e, v127
	v_sub_f32_e32 v112, v54, v48
	v_add_f32_e32 v77, v77, v75
	v_mov_b32_e32 v75, v151
	v_mov_b32_e32 v80, v78
	v_fmac_f32_e32 v78, 0xbf763a35, v110
	v_fmac_f32_e32 v75, 0x3f65296c, v112
	v_mul_f32_e32 v153, 0xbf763a35, v126
	v_add_f32_e32 v158, v78, v81
	v_add_f32_e32 v78, v75, v76
	v_mul_f32_e32 v154, 0xbe8c1d8e, v128
	v_fma_f32 v75, v111, s11, -v153
	v_add_f32_e32 v79, v75, v90
	v_mov_b32_e32 v75, v154
	v_fmac_f32_e32 v80, 0x3f763a35, v110
	v_fmac_f32_e32 v75, 0xbf763a35, v112
	v_mul_f32_e32 v81, 0x3f7ee86f, v126
	v_mul_f32_e32 v90, 0x3dbcf732, v128
	v_add_f32_e32 v82, v80, v82
	v_add_f32_e32 v80, v75, v155
	v_mov_b32_e32 v75, v81
	v_mov_b32_e32 v76, v90
	v_fmac_f32_e32 v75, 0x3dbcf732, v111
	v_fmac_f32_e32 v76, 0xbf7ee86f, v112
	v_fma_f32 v81, v111, s18, -v81
	v_fmac_f32_e32 v90, 0x3f7ee86f, v112
	v_add_f32_e32 v75, v75, v156
	v_add_f32_e32 v76, v76, v82
	;; [unrolled: 1-line block ×4, first 2 shown]
	s_barrier
	s_and_saveexec_b64 s[2:3], vcc
	s_cbranch_execz .LBB0_17
; %bb.16:
	v_mul_f32_e32 v90, 0xbf1a4643, v97
	v_mul_f32_e32 v155, 0xbf4c4adb, v98
	;; [unrolled: 1-line block ×3, first 2 shown]
	v_add_f32_e32 v83, v90, v83
	v_mul_f32_e32 v159, 0x3f763a35, v100
	v_mul_f32_e32 v162, 0x3f6eb680, v101
	v_sub_f32_e32 v84, v84, v155
	v_add_f32_e32 v83, v73, v83
	v_add_f32_e32 v85, v158, v85
	v_mul_f32_e32 v163, 0xbeb8f4ab, v102
	v_mul_f32_e32 v166, 0xbf59a7d5, v103
	v_add_f32_e32 v84, v74, v84
	v_sub_f32_e32 v86, v86, v159
	v_add_f32_e32 v83, v85, v83
	v_add_f32_e32 v85, v162, v129
	v_mul_f32_e32 v167, 0xbf06c442, v104
	v_mul_f32_e32 v170, 0x3dbcf732, v105
	v_add_f32_e32 v84, v86, v84
	;; [unrolled: 6-line block ×6, first 2 shown]
	v_sub_f32_e32 v86, v147, v179
	v_add_f32_e32 v83, v85, v83
	v_add_f32_e32 v85, v182, v149
	v_mul_f32_e32 v90, 0xbe8c1d8e, v114
	v_mul_f32_e32 v161, 0x3f65296c, v100
	v_sub_f32_e32 v39, v39, v157
	v_add_f32_e32 v84, v86, v84
	v_sub_f32_e32 v86, v151, v183
	v_add_f32_e32 v83, v85, v83
	v_mov_b32_e32 v85, v90
	v_mul_f32_e32 v135, 0xbf59a7d5, v116
	v_mul_f32_e32 v165, 0xbf7ee86f, v102
	v_add_f32_e32 v39, v74, v39
	v_sub_f32_e32 v132, v132, v161
	v_add_f32_e32 v84, v86, v84
	v_fmac_f32_e32 v85, 0x3f763a35, v98
	v_mov_b32_e32 v86, v135
	v_mul_f32_e32 v156, 0xbf59a7d5, v97
	v_add_f32_e32 v39, v132, v39
	v_sub_f32_e32 v132, v136, v165
	v_add_f32_e32 v85, v74, v85
	v_fmac_f32_e32 v86, 0xbf06c442, v100
	v_mul_f32_e32 v136, 0x3f3d2fb0, v119
	v_mul_f32_e32 v160, 0x3ee437d1, v99
	v_add_f32_e32 v38, v156, v38
	v_add_f32_e32 v85, v86, v85
	v_mov_b32_e32 v86, v136
	v_mul_f32_e32 v164, 0x3dbcf732, v101
	v_add_f32_e32 v38, v73, v38
	v_add_f32_e32 v130, v160, v130
	v_fmac_f32_e32 v86, 0xbf2c7751, v102
	v_mul_f32_e32 v137, 0x3ee437d1, v121
	v_mul_f32_e32 v168, 0xbf1a4643, v103
	v_add_f32_e32 v38, v130, v38
	v_add_f32_e32 v130, v164, v134
	;; [unrolled: 1-line block ×3, first 2 shown]
	v_mov_b32_e32 v86, v137
	v_add_f32_e32 v38, v130, v38
	v_add_f32_e32 v130, v168, v138
	v_fmac_f32_e32 v86, 0x3f65296c, v104
	v_mul_f32_e32 v138, 0xbf7ba420, v123
	v_add_f32_e32 v85, v86, v85
	v_mov_b32_e32 v86, v138
	v_fmac_f32_e32 v86, 0x3e3c28d5, v106
	v_mul_f32_e32 v139, 0x3dbcf732, v125
	v_mul_f32_e32 v169, 0x3f4c4adb, v104
	v_add_f32_e32 v85, v86, v85
	v_mov_b32_e32 v86, v139
	v_add_f32_e32 v39, v132, v39
	v_sub_f32_e32 v132, v140, v169
	v_fmac_f32_e32 v86, 0xbf7ee86f, v108
	v_mul_f32_e32 v140, 0x3f6eb680, v127
	v_add_f32_e32 v85, v86, v85
	v_mov_b32_e32 v86, v140
	v_fmac_f32_e32 v86, 0x3eb8f4ab, v110
	v_mul_f32_e32 v141, 0xbf1a4643, v128
	v_mul_f32_e32 v172, 0x3f6eb680, v105
	v_add_f32_e32 v85, v86, v85
	v_mov_b32_e32 v86, v141
	v_add_f32_e32 v38, v130, v38
	v_add_f32_e32 v130, v172, v142
	v_fmac_f32_e32 v86, 0x3f4c4adb, v112
	v_mul_f32_e32 v142, 0xbf763a35, v113
	v_add_f32_e32 v86, v86, v85
	v_mov_b32_e32 v85, v142
	v_mul_f32_e32 v143, 0x3f06c442, v115
	v_mul_f32_e32 v173, 0xbeb8f4ab, v106
	v_fmac_f32_e32 v85, 0xbe8c1d8e, v97
	v_mov_b32_e32 v129, v143
	v_add_f32_e32 v39, v132, v39
	v_sub_f32_e32 v132, v144, v173
	v_add_f32_e32 v85, v73, v85
	v_fmac_f32_e32 v129, 0xbf59a7d5, v99
	v_mul_f32_e32 v144, 0x3f2c7751, v117
	v_add_f32_e32 v85, v129, v85
	v_mov_b32_e32 v129, v144
	v_fmac_f32_e32 v129, 0x3f3d2fb0, v101
	v_mul_f32_e32 v145, 0xbf65296c, v118
	v_mul_f32_e32 v176, 0xbf7ba420, v107
	v_add_f32_e32 v85, v129, v85
	v_mov_b32_e32 v129, v145
	v_add_f32_e32 v38, v130, v38
	v_add_f32_e32 v130, v176, v146
	v_fmac_f32_e32 v129, 0x3ee437d1, v103
	v_mul_f32_e32 v146, 0xbe3c28d5, v120
	v_add_f32_e32 v85, v129, v85
	v_mov_b32_e32 v129, v146
	v_fmac_f32_e32 v129, 0xbf7ba420, v105
	v_mul_f32_e32 v147, 0x3f7ee86f, v122
	v_mul_f32_e32 v177, 0xbe3c28d5, v108
	v_add_f32_e32 v85, v129, v85
	v_mov_b32_e32 v129, v147
	v_add_f32_e32 v39, v132, v39
	v_sub_f32_e32 v132, v148, v177
	v_fmac_f32_e32 v129, 0x3dbcf732, v107
	v_mul_f32_e32 v148, 0xbeb8f4ab, v124
	v_add_f32_e32 v85, v129, v85
	v_mov_b32_e32 v129, v148
	v_fmac_f32_e32 v129, 0x3f6eb680, v109
	v_mul_f32_e32 v149, 0xbf4c4adb, v126
	v_mul_f32_e32 v180, 0x3f3d2fb0, v109
	v_add_f32_e32 v85, v129, v85
	v_mov_b32_e32 v129, v149
	v_mul_f32_e32 v184, 0xbe8c1d8e, v111
	v_add_f32_e32 v38, v130, v38
	v_add_f32_e32 v130, v180, v150
	v_fmac_f32_e32 v129, 0xbf1a4643, v111
	v_mul_f32_e32 v150, 0x3dbcf732, v114
	v_add_f32_e32 v38, v130, v38
	v_add_f32_e32 v130, v184, v153
	v_add_f32_e32 v85, v129, v85
	v_mov_b32_e32 v129, v150
	v_mul_f32_e32 v151, 0xbf7ba420, v116
	v_mul_f32_e32 v181, 0x3f2c7751, v110
	v_add_f32_e32 v38, v130, v38
	v_fmac_f32_e32 v129, 0x3f7ee86f, v98
	v_mov_b32_e32 v130, v151
	v_add_f32_e32 v39, v132, v39
	v_sub_f32_e32 v132, v152, v181
	v_add_f32_e32 v129, v74, v129
	v_fmac_f32_e32 v130, 0x3e3c28d5, v100
	v_mul_f32_e32 v152, 0xbe8c1d8e, v119
	v_add_f32_e32 v129, v130, v129
	v_mov_b32_e32 v130, v152
	v_fmac_f32_e32 v130, 0xbf763a35, v102
	v_mul_f32_e32 v153, 0x3f6eb680, v121
	v_mul_f32_e32 v185, 0xbf763a35, v112
	v_add_f32_e32 v129, v130, v129
	v_mov_b32_e32 v130, v153
	v_add_f32_e32 v39, v132, v39
	v_sub_f32_e32 v132, v154, v185
	v_fmac_f32_e32 v130, 0xbeb8f4ab, v104
	v_mul_f32_e32 v154, 0x3ee437d1, v123
	v_add_f32_e32 v129, v130, v129
	v_mov_b32_e32 v130, v154
	v_fmac_f32_e32 v130, 0x3f65296c, v106
	v_mul_f32_e32 v155, 0xbf59a7d5, v125
	v_add_f32_e32 v129, v130, v129
	v_mov_b32_e32 v130, v155
	;; [unrolled: 4-line block ×5, first 2 shown]
	v_mul_f32_e32 v159, 0xbe3c28d5, v115
	v_fmac_f32_e32 v129, 0x3dbcf732, v97
	v_mov_b32_e32 v131, v159
	v_add_f32_e32 v129, v73, v129
	v_fmac_f32_e32 v131, 0xbf7ba420, v99
	v_mul_f32_e32 v160, 0x3f763a35, v117
	v_add_f32_e32 v129, v131, v129
	v_mov_b32_e32 v131, v160
	v_fmac_f32_e32 v131, 0xbe8c1d8e, v101
	v_mul_f32_e32 v161, 0x3eb8f4ab, v118
	v_add_f32_e32 v129, v131, v129
	v_mov_b32_e32 v131, v161
	;; [unrolled: 4-line block ×3, first 2 shown]
	v_fmac_f32_e32 v131, 0x3ee437d1, v105
	v_mul_f32_e32 v163, 0xbf06c442, v122
	v_add_f32_e32 v41, v41, v74
	v_add_f32_e32 v129, v131, v129
	v_mov_b32_e32 v131, v163
	v_add_f32_e32 v41, v43, v41
	v_fmac_f32_e32 v131, 0xbf59a7d5, v107
	v_mul_f32_e32 v164, 0x3f4c4adb, v124
	v_add_f32_e32 v41, v45, v41
	v_add_f32_e32 v129, v131, v129
	v_mov_b32_e32 v131, v164
	v_add_f32_e32 v41, v47, v41
	;; [unrolled: 6-line block ×3, first 2 shown]
	v_fmac_f32_e32 v131, 0x3f3d2fb0, v111
	v_mul_f32_e32 v166, 0x3ee437d1, v114
	v_add_f32_e32 v41, v53, v41
	v_add_f32_e32 v129, v131, v129
	v_mov_b32_e32 v131, v166
	v_mul_f32_e32 v167, 0xbf1a4643, v116
	v_add_f32_e32 v41, v55, v41
	v_add_f32_e32 v39, v132, v39
	v_fmac_f32_e32 v131, 0x3f65296c, v98
	v_mov_b32_e32 v132, v167
	v_add_f32_e32 v41, v49, v41
	v_add_f32_e32 v131, v74, v131
	v_fmac_f32_e32 v132, 0x3f4c4adb, v100
	v_mul_f32_e32 v168, 0xbf7ba420, v119
	v_add_f32_e32 v41, v51, v41
	v_add_f32_e32 v131, v132, v131
	v_mov_b32_e32 v132, v168
	v_add_f32_e32 v37, v37, v41
	v_fmac_f32_e32 v132, 0xbe3c28d5, v102
	v_mul_f32_e32 v169, 0xbe8c1d8e, v121
	v_add_f32_e32 v37, v66, v37
	v_add_f32_e32 v131, v132, v131
	v_mov_b32_e32 v132, v169
	;; [unrolled: 6-line block ×3, first 2 shown]
	v_add_f32_e32 v1, v1, v37
	v_fmac_f32_e32 v132, 0xbf2c7751, v106
	v_mul_f32_e32 v171, 0x3f6eb680, v125
	v_add_f32_e32 v1, v3, v1
	v_add_f32_e32 v3, v40, v73
	;; [unrolled: 1-line block ×3, first 2 shown]
	v_mov_b32_e32 v132, v171
	v_add_f32_e32 v3, v42, v3
	v_fmac_f32_e32 v132, 0x3eb8f4ab, v108
	v_mul_f32_e32 v172, 0x3dbcf732, v127
	v_add_f32_e32 v3, v44, v3
	v_add_f32_e32 v131, v132, v131
	v_mov_b32_e32 v132, v172
	v_add_f32_e32 v3, v46, v3
	v_fmac_f32_e32 v132, 0x3f7ee86f, v110
	v_mul_f32_e32 v173, 0xbf59a7d5, v128
	v_add_f32_e32 v3, v56, v3
	v_add_f32_e32 v131, v132, v131
	;; [unrolled: 6-line block ×3, first 2 shown]
	v_mov_b32_e32 v131, v174
	v_mul_f32_e32 v175, 0xbf4c4adb, v115
	v_add_f32_e32 v3, v54, v3
	v_fmac_f32_e32 v131, 0x3ee437d1, v97
	v_mov_b32_e32 v133, v175
	v_add_f32_e32 v3, v48, v3
	v_add_f32_e32 v131, v73, v131
	v_fmac_f32_e32 v133, 0xbf1a4643, v99
	v_mul_f32_e32 v176, 0x3e3c28d5, v117
	v_add_f32_e32 v3, v50, v3
	v_add_f32_e32 v131, v133, v131
	v_mov_b32_e32 v133, v176
	v_add_f32_e32 v3, v36, v3
	v_fmac_f32_e32 v133, 0xbf7ba420, v101
	v_mul_f32_e32 v177, 0x3f763a35, v118
	v_add_f32_e32 v3, v65, v3
	v_add_f32_e32 v131, v133, v131
	v_mov_b32_e32 v133, v177
	;; [unrolled: 6-line block ×3, first 2 shown]
	v_add_f32_e32 v0, v0, v3
	v_fmac_f32_e32 v90, 0xbf763a35, v98
	v_fmac_f32_e32 v133, 0x3f3d2fb0, v105
	v_mul_f32_e32 v179, 0xbeb8f4ab, v122
	v_add_f32_e32 v0, v2, v0
	v_add_f32_e32 v2, v74, v90
	v_fmac_f32_e32 v135, 0x3f06c442, v100
	v_add_f32_e32 v131, v133, v131
	v_mov_b32_e32 v133, v179
	v_add_f32_e32 v2, v135, v2
	v_fmac_f32_e32 v136, 0x3f2c7751, v102
	v_fmac_f32_e32 v133, 0x3f6eb680, v107
	v_mul_f32_e32 v180, 0xbf7ee86f, v124
	v_add_f32_e32 v2, v136, v2
	v_fmac_f32_e32 v137, 0xbf65296c, v104
	v_add_f32_e32 v131, v133, v131
	v_mov_b32_e32 v133, v180
	v_add_f32_e32 v2, v137, v2
	v_fmac_f32_e32 v138, 0xbe3c28d5, v106
	v_fmac_f32_e32 v133, 0x3dbcf732, v109
	v_mul_f32_e32 v181, 0xbf06c442, v126
	;; [unrolled: 8-line block ×3, first 2 shown]
	v_add_f32_e32 v2, v140, v2
	v_fmac_f32_e32 v141, 0xbf4c4adb, v112
	v_add_f32_e32 v131, v133, v131
	v_mov_b32_e32 v133, v182
	v_mul_f32_e32 v183, 0x3dbcf732, v116
	v_add_f32_e32 v3, v141, v2
	v_fma_f32 v2, v97, s11, -v142
	v_fmac_f32_e32 v133, 0x3f2c7751, v98
	v_mov_b32_e32 v134, v183
	v_add_f32_e32 v2, v73, v2
	v_fma_f32 v36, v99, s9, -v143
	v_add_f32_e32 v133, v74, v133
	v_fmac_f32_e32 v134, 0x3f7ee86f, v100
	v_mul_f32_e32 v184, 0xbf1a4643, v119
	v_add_f32_e32 v2, v36, v2
	v_fma_f32 v36, v101, s19, -v144
	v_add_f32_e32 v133, v134, v133
	v_mov_b32_e32 v134, v184
	v_add_f32_e32 v2, v36, v2
	v_fma_f32 v36, v103, s16, -v145
	v_fmac_f32_e32 v134, 0x3f4c4adb, v102
	v_mul_f32_e32 v185, 0xbf7ba420, v121
	v_add_f32_e32 v2, v36, v2
	v_fma_f32 v36, v105, s10, -v146
	v_add_f32_e32 v133, v134, v133
	v_mov_b32_e32 v134, v185
	v_add_f32_e32 v2, v36, v2
	v_fma_f32 v36, v107, s18, -v147
	v_fmac_f32_e32 v134, 0x3e3c28d5, v104
	v_mul_f32_e32 v186, 0xbf59a7d5, v123
	v_add_f32_e32 v2, v36, v2
	v_fma_f32 v36, v109, s17, -v148
	v_add_f32_e32 v133, v134, v133
	v_mov_b32_e32 v134, v186
	v_add_f32_e32 v2, v36, v2
	v_fma_f32 v36, v111, s8, -v149
	v_fmac_f32_e32 v150, 0xbf7ee86f, v98
	v_fmac_f32_e32 v134, 0xbf06c442, v106
	v_mul_f32_e32 v187, 0xbe8c1d8e, v125
	v_add_f32_e32 v2, v36, v2
	v_add_f32_e32 v36, v74, v150
	v_fmac_f32_e32 v151, 0xbe3c28d5, v100
	v_add_f32_e32 v133, v134, v133
	v_mov_b32_e32 v134, v187
	v_add_f32_e32 v36, v151, v36
	v_fmac_f32_e32 v152, 0x3f763a35, v102
	v_fmac_f32_e32 v134, 0xbf763a35, v108
	v_mul_f32_e32 v188, 0x3ee437d1, v127
	v_add_f32_e32 v36, v152, v36
	v_fmac_f32_e32 v153, 0x3eb8f4ab, v104
	v_add_f32_e32 v133, v134, v133
	v_mov_b32_e32 v134, v188
	v_add_f32_e32 v36, v153, v36
	v_fmac_f32_e32 v154, 0xbf65296c, v106
	v_fmac_f32_e32 v134, 0xbf65296c, v110
	v_mul_f32_e32 v189, 0x3f6eb680, v128
	;; [unrolled: 8-line block ×3, first 2 shown]
	v_add_f32_e32 v36, v156, v36
	v_fmac_f32_e32 v157, 0x3f2c7751, v112
	v_add_f32_e32 v134, v134, v133
	v_mov_b32_e32 v133, v190
	v_mul_f32_e32 v191, 0xbf7ee86f, v115
	v_add_f32_e32 v37, v157, v36
	v_fma_f32 v36, v97, s18, -v158
	v_fmac_f32_e32 v133, 0x3f3d2fb0, v97
	v_mov_b32_e32 v192, v191
	v_add_f32_e32 v36, v73, v36
	v_fma_f32 v40, v99, s10, -v159
	v_add_f32_e32 v133, v73, v133
	v_fmac_f32_e32 v192, 0x3dbcf732, v99
	v_add_f32_e32 v36, v40, v36
	v_fma_f32 v40, v101, s11, -v160
	v_add_f32_e32 v133, v192, v133
	v_mul_f32_e32 v192, 0xbf4c4adb, v117
	v_add_f32_e32 v36, v40, v36
	v_fma_f32 v40, v103, s17, -v161
	v_mov_b32_e32 v193, v192
	v_add_f32_e32 v36, v40, v36
	v_fma_f32 v40, v105, s16, -v162
	v_fmac_f32_e32 v193, 0xbf1a4643, v101
	v_add_f32_e32 v36, v40, v36
	v_fma_f32 v40, v107, s9, -v163
	v_add_f32_e32 v133, v193, v133
	v_mul_f32_e32 v193, 0xbe3c28d5, v118
	v_add_f32_e32 v36, v40, v36
	v_fma_f32 v40, v109, s8, -v164
	v_mov_b32_e32 v194, v193
	v_add_f32_e32 v36, v40, v36
	v_fma_f32 v40, v111, s19, -v165
	v_fmac_f32_e32 v166, 0xbf65296c, v98
	v_fmac_f32_e32 v194, 0xbf7ba420, v103
	v_add_f32_e32 v36, v40, v36
	v_add_f32_e32 v40, v74, v166
	v_fmac_f32_e32 v167, 0xbf4c4adb, v100
	v_add_f32_e32 v133, v194, v133
	v_mul_f32_e32 v194, 0x3f06c442, v120
	v_add_f32_e32 v40, v167, v40
	v_fmac_f32_e32 v168, 0x3e3c28d5, v102
	v_mov_b32_e32 v195, v194
	v_add_f32_e32 v40, v168, v40
	v_fmac_f32_e32 v169, 0x3f763a35, v104
	v_fmac_f32_e32 v195, 0xbf59a7d5, v105
	v_add_f32_e32 v40, v169, v40
	v_fmac_f32_e32 v170, 0x3f2c7751, v106
	v_add_f32_e32 v133, v195, v133
	v_mul_f32_e32 v195, 0x3f763a35, v122
	v_add_f32_e32 v40, v170, v40
	v_fmac_f32_e32 v171, 0xbeb8f4ab, v108
	v_mov_b32_e32 v196, v195
	v_add_f32_e32 v40, v171, v40
	v_fmac_f32_e32 v172, 0xbf7ee86f, v110
	v_fmac_f32_e32 v196, 0xbe8c1d8e, v107
	v_add_f32_e32 v40, v172, v40
	v_fmac_f32_e32 v173, 0xbf06c442, v112
	v_add_f32_e32 v133, v196, v133
	v_mul_f32_e32 v196, 0x3f65296c, v124
	v_add_f32_e32 v41, v173, v40
	v_fma_f32 v40, v97, s16, -v174
	v_mov_b32_e32 v197, v196
	v_add_f32_e32 v40, v73, v40
	v_fma_f32 v42, v99, s8, -v175
	v_fmac_f32_e32 v197, 0x3ee437d1, v109
	v_add_f32_e32 v40, v42, v40
	v_fma_f32 v42, v101, s10, -v176
	v_add_f32_e32 v133, v197, v133
	v_mul_f32_e32 v197, 0x3eb8f4ab, v126
	v_add_f32_e32 v40, v42, v40
	v_fma_f32 v42, v103, s11, -v177
	v_mov_b32_e32 v198, v197
	v_add_f32_e32 v40, v42, v40
	v_fma_f32 v42, v105, s19, -v178
	v_fmac_f32_e32 v198, 0x3f6eb680, v111
	v_add_f32_e32 v40, v42, v40
	v_fma_f32 v42, v107, s17, -v179
	v_add_f32_e32 v133, v198, v133
	v_mul_f32_e32 v198, 0x3f6eb680, v114
	v_add_f32_e32 v40, v42, v40
	v_fma_f32 v42, v109, s18, -v180
	v_mov_b32_e32 v114, v198
	v_mul_f32_e32 v116, 0x3f3d2fb0, v116
	v_add_f32_e32 v40, v42, v40
	v_fma_f32 v42, v111, s9, -v181
	v_fmac_f32_e32 v182, 0xbf2c7751, v98
	v_fmac_f32_e32 v114, 0x3eb8f4ab, v98
	v_mov_b32_e32 v199, v116
	v_add_f32_e32 v40, v42, v40
	v_add_f32_e32 v42, v74, v182
	v_fmac_f32_e32 v183, 0xbf7ee86f, v100
	v_add_f32_e32 v114, v74, v114
	v_fmac_f32_e32 v199, 0x3f2c7751, v100
	v_mul_f32_e32 v119, 0x3ee437d1, v119
	v_add_f32_e32 v42, v183, v42
	v_fmac_f32_e32 v184, 0xbf4c4adb, v102
	v_add_f32_e32 v114, v199, v114
	v_mov_b32_e32 v199, v119
	v_add_f32_e32 v42, v184, v42
	v_fmac_f32_e32 v185, 0xbe3c28d5, v104
	v_fmac_f32_e32 v199, 0x3f65296c, v102
	v_mul_f32_e32 v121, 0x3dbcf732, v121
	v_add_f32_e32 v42, v185, v42
	v_fmac_f32_e32 v186, 0x3f06c442, v106
	v_add_f32_e32 v114, v199, v114
	v_mov_b32_e32 v199, v121
	v_add_f32_e32 v42, v186, v42
	v_fmac_f32_e32 v187, 0x3f763a35, v108
	;; [unrolled: 8-line block ×3, first 2 shown]
	v_fmac_f32_e32 v199, 0x3f763a35, v106
	v_mul_f32_e32 v125, 0xbf1a4643, v125
	v_add_f32_e32 v43, v189, v42
	v_fma_f32 v42, v97, s19, -v190
	v_add_f32_e32 v114, v199, v114
	v_mov_b32_e32 v199, v125
	v_add_f32_e32 v42, v73, v42
	v_fma_f32 v44, v99, s18, -v191
	v_fmac_f32_e32 v199, 0x3f4c4adb, v108
	v_mul_f32_e32 v127, 0xbf59a7d5, v127
	v_add_f32_e32 v42, v44, v42
	v_fma_f32 v44, v101, s8, -v192
	v_add_f32_e32 v114, v199, v114
	v_mov_b32_e32 v199, v127
	v_add_f32_e32 v42, v44, v42
	v_fma_f32 v44, v103, s10, -v193
	;; [unrolled: 8-line block ×3, first 2 shown]
	v_fmac_f32_e32 v199, 0x3e3c28d5, v112
	v_add_f32_e32 v42, v44, v42
	v_fma_f32 v44, v109, s16, -v196
	v_add_f32_e32 v114, v199, v114
	v_mul_f32_e32 v199, 0xbeb8f4ab, v113
	v_add_f32_e32 v42, v44, v42
	v_fma_f32 v44, v111, s17, -v197
	v_fmac_f32_e32 v198, 0xbeb8f4ab, v98
	v_mov_b32_e32 v113, v199
	v_mul_f32_e32 v115, 0xbf2c7751, v115
	v_add_f32_e32 v42, v44, v42
	v_add_f32_e32 v44, v74, v198
	v_fmac_f32_e32 v116, 0xbf2c7751, v100
	v_fmac_f32_e32 v113, 0x3f6eb680, v97
	v_mov_b32_e32 v200, v115
	v_add_f32_e32 v44, v116, v44
	v_fmac_f32_e32 v119, 0xbf65296c, v102
	v_add_f32_e32 v113, v73, v113
	v_fmac_f32_e32 v200, 0x3f3d2fb0, v99
	v_mul_f32_e32 v117, 0xbf65296c, v117
	v_add_f32_e32 v44, v119, v44
	v_fmac_f32_e32 v121, 0xbf7ee86f, v104
	v_add_f32_e32 v113, v200, v113
	v_mov_b32_e32 v200, v117
	v_add_f32_e32 v44, v121, v44
	v_fmac_f32_e32 v123, 0xbf763a35, v106
	v_fmac_f32_e32 v200, 0x3ee437d1, v101
	v_mul_f32_e32 v118, 0xbf7ee86f, v118
	v_add_f32_e32 v44, v123, v44
	v_fmac_f32_e32 v125, 0xbf4c4adb, v108
	v_add_f32_e32 v113, v200, v113
	v_mov_b32_e32 v200, v118
	v_add_f32_e32 v44, v125, v44
	v_fmac_f32_e32 v127, 0xbf06c442, v110
	v_fmac_f32_e32 v200, 0x3dbcf732, v103
	v_mul_f32_e32 v120, 0xbf763a35, v120
	v_add_f32_e32 v44, v127, v44
	v_fmac_f32_e32 v128, 0xbe3c28d5, v112
	v_add_f32_e32 v113, v200, v113
	v_mov_b32_e32 v200, v120
	v_add_f32_e32 v45, v128, v44
	v_fma_f32 v44, v97, s17, -v199
	v_fmac_f32_e32 v200, 0xbe8c1d8e, v105
	v_mul_f32_e32 v122, 0xbf4c4adb, v122
	v_add_f32_e32 v44, v73, v44
	v_fma_f32 v46, v99, s19, -v115
	v_add_f32_e32 v113, v200, v113
	v_mov_b32_e32 v200, v122
	v_add_f32_e32 v44, v46, v44
	v_fma_f32 v46, v101, s16, -v117
	v_fmac_f32_e32 v200, 0xbf1a4643, v107
	v_mul_f32_e32 v124, 0xbf06c442, v124
	v_add_f32_e32 v44, v46, v44
	v_fma_f32 v46, v103, s18, -v118
	;; [unrolled: 8-line block ×3, first 2 shown]
	v_add_f32_e32 v113, v200, v113
	v_mov_b32_e32 v200, v126
	v_add_f32_e32 v44, v46, v44
	v_fma_f32 v46, v109, s9, -v124
	v_fmac_f32_e32 v200, 0xbf7ba420, v111
	v_add_f32_e32 v44, v46, v44
	v_fma_f32 v46, v111, s10, -v126
	v_add_f32_e32 v113, v200, v113
	v_add_f32_e32 v44, v46, v44
	v_lshl_add_u32 v46, v201, 3, v89
	ds_write2_b64 v46, v[0:1], v[113:114] offset1:1
	ds_write2_b64 v46, v[133:134], v[131:132] offset0:2 offset1:3
	ds_write2_b64 v46, v[129:130], v[85:86] offset0:4 offset1:5
	;; [unrolled: 1-line block ×7, first 2 shown]
	ds_write_b64 v46, v[44:45] offset:128
.LBB0_17:
	s_or_b64 exec, exec, s[2:3]
	v_add_u32_e32 v48, 0x800, v91
	v_add_u32_e32 v36, 0x1000, v91
	s_waitcnt lgkmcnt(0)
	s_barrier
	ds_read2_b64 v[0:3], v91 offset1:68
	ds_read2_b64 v[44:47], v91 offset0:187 offset1:255
	ds_read2_b64 v[40:43], v48 offset0:118 offset1:186
	ds_read2_b64 v[36:39], v36 offset0:49 offset1:117
	s_and_saveexec_b64 s[2:3], s[0:1]
	s_cbranch_execz .LBB0_19
; %bb.18:
	ds_read2_b64 v[48:51], v48 offset0:67 offset1:254
	ds_read_b64 v[75:76], v91 offset:1088
	ds_read_b64 v[77:78], v91 offset:5576
	s_waitcnt lgkmcnt(2)
	v_mov_b32_e32 v79, v50
	v_mov_b32_e32 v80, v51
	v_mov_b32_e32 v81, v48
	v_mov_b32_e32 v82, v49
.LBB0_19:
	s_or_b64 exec, exec, s[2:3]
	s_waitcnt lgkmcnt(2)
	v_mul_f32_e32 v48, v13, v45
	v_mul_f32_e32 v13, v13, v44
	v_fmac_f32_e32 v48, v12, v44
	v_fma_f32 v12, v12, v45, -v13
	s_waitcnt lgkmcnt(1)
	v_mul_f32_e32 v13, v15, v41
	v_mul_f32_e32 v15, v15, v40
	v_fmac_f32_e32 v13, v14, v40
	v_fma_f32 v14, v14, v41, -v15
	s_waitcnt lgkmcnt(0)
	v_mul_f32_e32 v15, v70, v37
	v_fmac_f32_e32 v15, v69, v36
	v_mul_f32_e32 v36, v70, v36
	v_fma_f32 v36, v69, v37, -v36
	v_mul_f32_e32 v37, v9, v47
	v_mul_f32_e32 v9, v9, v46
	v_fmac_f32_e32 v37, v8, v46
	v_fma_f32 v40, v8, v47, -v9
	v_mul_f32_e32 v41, v11, v43
	v_mul_f32_e32 v8, v11, v42
	v_fmac_f32_e32 v41, v10, v42
	;; [unrolled: 4-line block ×3, first 2 shown]
	v_fma_f32 v38, v71, v39, -v8
	v_sub_f32_e32 v13, v0, v13
	v_sub_f32_e32 v14, v1, v14
	;; [unrolled: 1-line block ×4, first 2 shown]
	v_fma_f32 v8, v0, 2.0, -v13
	v_fma_f32 v9, v1, 2.0, -v14
	;; [unrolled: 1-line block ×4, first 2 shown]
	v_add_f32_e32 v10, v13, v10
	v_sub_f32_e32 v11, v14, v11
	v_sub_f32_e32 v39, v2, v41
	;; [unrolled: 1-line block ×7, first 2 shown]
	v_fma_f32 v12, v13, 2.0, -v10
	v_fma_f32 v13, v14, 2.0, -v11
	;; [unrolled: 1-line block ×8, first 2 shown]
	v_sub_f32_e32 v2, v14, v2
	v_sub_f32_e32 v3, v15, v3
	v_add_f32_e32 v36, v39, v36
	v_sub_f32_e32 v37, v41, v42
	v_fma_f32 v14, v14, 2.0, -v2
	v_fma_f32 v15, v15, 2.0, -v3
	v_fma_f32 v38, v39, 2.0, -v36
	v_fma_f32 v39, v41, 2.0, -v37
	s_barrier
	ds_write2_b64 v95, v[8:9], v[12:13] offset1:17
	ds_write2_b64 v95, v[0:1], v[10:11] offset0:34 offset1:51
	ds_write2_b64 v96, v[14:15], v[38:39] offset1:17
	ds_write2_b64 v96, v[2:3], v[36:37] offset0:34 offset1:51
	s_and_saveexec_b64 s[2:3], s[0:1]
	s_cbranch_execz .LBB0_21
; %bb.20:
	v_mul_f32_e32 v0, v7, v79
	v_fma_f32 v0, v6, v80, -v0
	v_sub_f32_e32 v8, v76, v0
	v_mul_f32_e32 v9, v5, v82
	v_mul_f32_e32 v0, v68, v78
	v_fmac_f32_e32 v9, v4, v81
	v_fmac_f32_e32 v0, v67, v77
	v_sub_f32_e32 v10, v9, v0
	v_mul_f32_e32 v0, v7, v80
	v_fmac_f32_e32 v0, v6, v79
	v_sub_f32_e32 v6, v75, v0
	v_mul_f32_e32 v0, v5, v81
	v_fma_f32 v4, v4, v82, -v0
	v_mul_f32_e32 v0, v68, v77
	v_fma_f32 v0, v67, v78, -v0
	v_sub_f32_e32 v5, v4, v0
	v_sub_f32_e32 v1, v8, v10
	v_add_f32_e32 v0, v6, v5
	v_fma_f32 v7, v76, 2.0, -v8
	v_fma_f32 v4, v4, 2.0, -v5
	;; [unrolled: 1-line block ×4, first 2 shown]
	v_sub_f32_e32 v5, v7, v4
	v_fma_f32 v6, v75, 2.0, -v6
	v_fma_f32 v4, v9, 2.0, -v10
	v_mul_u32_u24_e32 v8, 0x44, v92
	v_sub_f32_e32 v4, v6, v4
	v_add_u32_e32 v8, v8, v93
	v_fma_f32 v7, v7, 2.0, -v5
	v_fma_f32 v6, v6, 2.0, -v4
	v_lshl_add_u32 v8, v8, 3, v89
	ds_write2_b64 v8, v[6:7], v[2:3] offset1:17
	ds_write2_b64 v8, v[4:5], v[0:1] offset0:34 offset1:51
.LBB0_21:
	s_or_b64 exec, exec, s[2:3]
	s_waitcnt lgkmcnt(0)
	s_barrier
	ds_read2_b64 v[0:3], v91 offset1:68
	ds_read2_b64 v[4:7], v91 offset0:136 offset1:204
	v_add_u32_e32 v12, 0x800, v91
	ds_read2_b64 v[8:11], v12 offset0:16 offset1:84
	ds_read2_b64 v[12:15], v12 offset0:152 offset1:220
	v_add_u32_e32 v36, 0x1000, v91
	s_waitcnt lgkmcnt(3)
	v_mul_f32_e32 v42, v29, v3
	v_fmac_f32_e32 v42, v28, v2
	v_mul_f32_e32 v2, v29, v2
	v_fma_f32 v28, v28, v3, -v2
	s_waitcnt lgkmcnt(2)
	v_mul_f32_e32 v29, v31, v5
	v_mul_f32_e32 v2, v31, v4
	v_fmac_f32_e32 v29, v30, v4
	v_fma_f32 v4, v30, v5, -v2
	v_mul_f32_e32 v5, v25, v7
	v_mul_f32_e32 v2, v25, v6
	ds_read2_b64 v[36:39], v36 offset0:32 offset1:100
	ds_read_b64 v[40:41], v91 offset:5440
	v_fmac_f32_e32 v5, v24, v6
	v_fma_f32 v6, v24, v7, -v2
	s_waitcnt lgkmcnt(3)
	v_mul_f32_e32 v7, v27, v9
	v_mul_f32_e32 v2, v27, v8
	v_fmac_f32_e32 v7, v26, v8
	v_fma_f32 v8, v26, v9, -v2
	v_mul_f32_e32 v9, v21, v11
	v_mul_f32_e32 v2, v21, v10
	v_fmac_f32_e32 v9, v20, v10
	v_fma_f32 v10, v20, v11, -v2
	s_waitcnt lgkmcnt(2)
	v_mul_f32_e32 v11, v23, v13
	v_mul_f32_e32 v2, v23, v12
	v_add_f32_e32 v3, v1, v28
	v_fmac_f32_e32 v11, v22, v12
	v_fma_f32 v12, v22, v13, -v2
	v_mul_f32_e32 v13, v17, v15
	v_mul_f32_e32 v2, v17, v14
	v_add_f32_e32 v3, v3, v4
	v_fmac_f32_e32 v13, v16, v14
	v_fma_f32 v14, v16, v15, -v2
	s_waitcnt lgkmcnt(1)
	v_mul_f32_e32 v2, v19, v36
	v_add_f32_e32 v3, v3, v6
	v_mul_f32_e32 v15, v19, v37
	v_fma_f32 v16, v18, v37, -v2
	v_mul_f32_e32 v2, v33, v38
	v_add_f32_e32 v3, v3, v8
	v_fmac_f32_e32 v15, v18, v36
	v_fma_f32 v18, v32, v39, -v2
	s_waitcnt lgkmcnt(0)
	v_mul_f32_e32 v2, v35, v40
	v_add_f32_e32 v3, v3, v10
	v_fma_f32 v20, v34, v41, -v2
	v_add_f32_e32 v2, v0, v42
	v_add_f32_e32 v3, v3, v12
	;; [unrolled: 1-line block ×8, first 2 shown]
	v_mul_f32_e32 v17, v33, v39
	v_mul_f32_e32 v19, v35, v41
	v_add_f32_e32 v2, v2, v9
	v_add_f32_e32 v3, v3, v20
	;; [unrolled: 1-line block ×3, first 2 shown]
	v_sub_f32_e32 v20, v28, v20
	v_fmac_f32_e32 v17, v32, v38
	v_fmac_f32_e32 v19, v34, v40
	v_add_f32_e32 v2, v2, v11
	v_mul_f32_e32 v23, 0xbf0a6770, v20
	v_mul_f32_e32 v27, 0xbf68dda4, v20
	;; [unrolled: 1-line block ×5, first 2 shown]
	v_add_f32_e32 v2, v2, v13
	v_add_f32_e32 v21, v42, v19
	s_mov_b32 s3, 0x3f575c64
	v_mov_b32_e32 v24, v23
	s_mov_b32 s0, 0x3ed4b147
	v_mov_b32_e32 v28, v27
	;; [unrolled: 2-line block ×5, first 2 shown]
	v_add_f32_e32 v2, v2, v15
	v_fmac_f32_e32 v24, 0x3f575c64, v21
	v_fma_f32 v23, v21, s3, -v23
	v_fmac_f32_e32 v28, 0x3ed4b147, v21
	v_fma_f32 v27, v21, s0, -v27
	;; [unrolled: 2-line block ×5, first 2 shown]
	v_add_f32_e32 v2, v2, v17
	v_add_f32_e32 v24, v0, v24
	v_mul_f32_e32 v25, 0x3f575c64, v22
	v_add_f32_e32 v23, v0, v23
	v_add_f32_e32 v28, v0, v28
	v_mul_f32_e32 v30, 0x3ed4b147, v22
	;; [unrolled: 3-line block ×5, first 2 shown]
	v_add_f32_e32 v0, v0, v20
	v_add_f32_e32 v20, v4, v18
	v_sub_f32_e32 v4, v4, v18
	v_add_f32_e32 v2, v2, v19
	v_sub_f32_e32 v19, v42, v19
	v_mov_b32_e32 v26, v25
	v_mov_b32_e32 v31, v30
	v_mov_b32_e32 v35, v34
	v_mov_b32_e32 v39, v38
	v_mov_b32_e32 v41, v22
	v_mul_f32_e32 v18, 0xbf68dda4, v4
	v_fmac_f32_e32 v26, 0x3f0a6770, v19
	v_fmac_f32_e32 v25, 0xbf0a6770, v19
	;; [unrolled: 1-line block ×10, first 2 shown]
	v_add_f32_e32 v19, v29, v17
	v_mov_b32_e32 v21, v18
	v_add_f32_e32 v26, v1, v26
	v_add_f32_e32 v25, v1, v25
	;; [unrolled: 1-line block ×10, first 2 shown]
	v_sub_f32_e32 v17, v29, v17
	v_fmac_f32_e32 v21, 0x3ed4b147, v19
	v_mul_f32_e32 v22, 0x3ed4b147, v20
	v_fma_f32 v18, v19, s0, -v18
	v_add_f32_e32 v21, v21, v24
	v_mov_b32_e32 v24, v22
	v_add_f32_e32 v18, v18, v23
	v_fmac_f32_e32 v22, 0xbf68dda4, v17
	v_mul_f32_e32 v23, 0xbf4178ce, v4
	v_fmac_f32_e32 v24, 0x3f68dda4, v17
	v_add_f32_e32 v22, v22, v25
	v_mov_b32_e32 v25, v23
	v_fma_f32 v23, v19, s8, -v23
	v_add_f32_e32 v24, v24, v26
	v_fmac_f32_e32 v25, 0xbf27a4f4, v19
	v_mul_f32_e32 v26, 0xbf27a4f4, v20
	v_add_f32_e32 v23, v23, v27
	v_mul_f32_e32 v27, 0x3e903f40, v4
	v_add_f32_e32 v25, v25, v28
	v_mov_b32_e32 v28, v26
	v_fmac_f32_e32 v26, 0xbf4178ce, v17
	v_mov_b32_e32 v29, v27
	v_fma_f32 v27, v19, s9, -v27
	v_fmac_f32_e32 v28, 0x3f4178ce, v17
	v_add_f32_e32 v26, v26, v30
	v_fmac_f32_e32 v29, 0xbf75a155, v19
	v_mul_f32_e32 v30, 0xbf75a155, v20
	v_add_f32_e32 v27, v27, v32
	v_mul_f32_e32 v32, 0x3f7d64f0, v4
	v_add_f32_e32 v28, v28, v31
	v_add_f32_e32 v29, v29, v33
	v_mov_b32_e32 v31, v30
	v_fmac_f32_e32 v30, 0x3e903f40, v17
	v_mov_b32_e32 v33, v32
	v_fmac_f32_e32 v31, 0xbe903f40, v17
	v_add_f32_e32 v30, v30, v34
	v_fmac_f32_e32 v33, 0xbe11bafb, v19
	v_mul_f32_e32 v34, 0xbe11bafb, v20
	v_mul_f32_e32 v20, 0x3f575c64, v20
	v_add_f32_e32 v31, v31, v35
	v_add_f32_e32 v33, v33, v37
	v_mov_b32_e32 v35, v34
	v_fma_f32 v32, v19, s1, -v32
	v_mul_f32_e32 v4, 0x3f0a6770, v4
	v_mov_b32_e32 v37, v20
	v_fmac_f32_e32 v35, 0xbf7d64f0, v17
	v_add_f32_e32 v32, v32, v36
	v_fmac_f32_e32 v34, 0x3f7d64f0, v17
	v_mov_b32_e32 v36, v4
	v_fmac_f32_e32 v37, 0xbf0a6770, v17
	v_fma_f32 v4, v19, s3, -v4
	v_fmac_f32_e32 v20, 0x3f0a6770, v17
	v_add_f32_e32 v17, v6, v16
	v_sub_f32_e32 v6, v6, v16
	v_fmac_f32_e32 v36, 0x3f575c64, v19
	v_add_f32_e32 v0, v4, v0
	v_add_f32_e32 v4, v5, v15
	v_sub_f32_e32 v5, v5, v15
	v_mul_f32_e32 v15, 0xbf7d64f0, v6
	v_mul_f32_e32 v19, 0xbe11bafb, v17
	v_add_f32_e32 v1, v20, v1
	v_mov_b32_e32 v16, v15
	v_mov_b32_e32 v20, v19
	v_fma_f32 v15, v4, s1, -v15
	v_fmac_f32_e32 v19, 0xbf7d64f0, v5
	v_fmac_f32_e32 v16, 0xbe11bafb, v4
	v_add_f32_e32 v15, v15, v18
	v_add_f32_e32 v18, v19, v22
	v_mul_f32_e32 v19, 0x3e903f40, v6
	v_add_f32_e32 v16, v16, v21
	v_mov_b32_e32 v21, v19
	v_fma_f32 v19, v4, s9, -v19
	v_fmac_f32_e32 v21, 0xbf75a155, v4
	v_add_f32_e32 v19, v19, v23
	v_mul_f32_e32 v23, 0x3f68dda4, v6
	v_fmac_f32_e32 v20, 0x3f7d64f0, v5
	v_add_f32_e32 v21, v21, v25
	v_mul_f32_e32 v22, 0xbf75a155, v17
	v_mov_b32_e32 v25, v23
	v_fma_f32 v23, v4, s0, -v23
	v_add_f32_e32 v20, v20, v24
	v_mov_b32_e32 v24, v22
	v_fmac_f32_e32 v22, 0x3e903f40, v5
	v_fmac_f32_e32 v25, 0x3ed4b147, v4
	v_add_f32_e32 v23, v23, v27
	v_mul_f32_e32 v27, 0xbf0a6770, v6
	v_fmac_f32_e32 v24, 0xbe903f40, v5
	v_add_f32_e32 v22, v22, v26
	v_add_f32_e32 v25, v25, v29
	v_mul_f32_e32 v26, 0x3ed4b147, v17
	v_mov_b32_e32 v29, v27
	v_fma_f32 v27, v4, s3, -v27
	v_mul_f32_e32 v6, 0xbf4178ce, v6
	v_add_f32_e32 v24, v24, v28
	v_mov_b32_e32 v28, v26
	v_fmac_f32_e32 v26, 0x3f68dda4, v5
	v_add_f32_e32 v27, v27, v32
	v_mov_b32_e32 v32, v6
	v_fmac_f32_e32 v28, 0xbf68dda4, v5
	v_add_f32_e32 v26, v26, v30
	v_fmac_f32_e32 v29, 0x3f575c64, v4
	v_mul_f32_e32 v30, 0x3f575c64, v17
	v_fmac_f32_e32 v32, 0xbf27a4f4, v4
	v_mul_f32_e32 v17, 0xbf27a4f4, v17
	v_fma_f32 v4, v4, s8, -v6
	v_add_f32_e32 v28, v28, v31
	v_add_f32_e32 v29, v29, v33
	v_mov_b32_e32 v31, v30
	v_mov_b32_e32 v33, v17
	v_add_f32_e32 v0, v4, v0
	v_add_f32_e32 v4, v7, v13
	v_sub_f32_e32 v6, v7, v13
	v_sub_f32_e32 v7, v8, v14
	v_fmac_f32_e32 v31, 0x3f0a6770, v5
	v_fmac_f32_e32 v30, 0xbf0a6770, v5
	;; [unrolled: 1-line block ×4, first 2 shown]
	v_add_f32_e32 v5, v8, v14
	v_mul_f32_e32 v8, 0xbf4178ce, v7
	v_mov_b32_e32 v13, v8
	v_fma_f32 v8, v4, s8, -v8
	v_fmac_f32_e32 v13, 0xbf27a4f4, v4
	v_mul_f32_e32 v14, 0xbf27a4f4, v5
	v_add_f32_e32 v8, v8, v15
	v_mul_f32_e32 v15, 0x3f7d64f0, v7
	v_add_f32_e32 v1, v17, v1
	v_add_f32_e32 v13, v13, v16
	v_mov_b32_e32 v16, v14
	v_fmac_f32_e32 v14, 0xbf4178ce, v6
	v_mov_b32_e32 v17, v15
	v_fma_f32 v15, v4, s1, -v15
	v_fmac_f32_e32 v16, 0x3f4178ce, v6
	v_add_f32_e32 v14, v14, v18
	v_fmac_f32_e32 v17, 0xbe11bafb, v4
	v_mul_f32_e32 v18, 0xbe11bafb, v5
	v_add_f32_e32 v15, v15, v19
	v_mul_f32_e32 v19, 0xbf0a6770, v7
	v_add_f32_e32 v16, v16, v20
	v_add_f32_e32 v17, v17, v21
	v_mov_b32_e32 v20, v18
	v_fmac_f32_e32 v18, 0x3f7d64f0, v6
	v_mov_b32_e32 v21, v19
	v_fma_f32 v19, v4, s3, -v19
	v_fmac_f32_e32 v20, 0xbf7d64f0, v6
	v_add_f32_e32 v18, v18, v22
	v_fmac_f32_e32 v21, 0x3f575c64, v4
	v_mul_f32_e32 v22, 0x3f575c64, v5
	v_add_f32_e32 v19, v19, v23
	v_mul_f32_e32 v23, 0xbe903f40, v7
	v_add_f32_e32 v20, v20, v24
	v_add_f32_e32 v21, v21, v25
	v_mov_b32_e32 v24, v22
	v_fmac_f32_e32 v22, 0xbf0a6770, v6
	v_mov_b32_e32 v25, v23
	v_fma_f32 v23, v4, s9, -v23
	v_mul_f32_e32 v7, 0x3f68dda4, v7
	v_add_f32_e32 v35, v35, v39
	v_add_f32_e32 v34, v34, v38
	;; [unrolled: 1-line block ×3, first 2 shown]
	v_fmac_f32_e32 v24, 0x3f0a6770, v6
	v_add_f32_e32 v22, v22, v26
	v_fmac_f32_e32 v25, 0xbf75a155, v4
	v_mul_f32_e32 v26, 0xbf75a155, v5
	v_add_f32_e32 v23, v23, v27
	v_mov_b32_e32 v27, v7
	v_mul_f32_e32 v5, 0x3ed4b147, v5
	v_add_f32_e32 v37, v37, v41
	v_add_f32_e32 v31, v31, v35
	;; [unrolled: 1-line block ×6, first 2 shown]
	v_mov_b32_e32 v28, v26
	v_fmac_f32_e32 v26, 0xbe903f40, v6
	v_fmac_f32_e32 v27, 0x3ed4b147, v4
	v_mov_b32_e32 v29, v5
	v_fma_f32 v4, v4, s0, -v7
	v_sub_f32_e32 v35, v10, v12
	v_add_f32_e32 v33, v33, v37
	v_add_f32_e32 v26, v26, v30
	;; [unrolled: 1-line block ×3, first 2 shown]
	v_fmac_f32_e32 v29, 0xbf68dda4, v6
	v_add_f32_e32 v30, v4, v0
	v_add_f32_e32 v32, v9, v11
	v_mul_f32_e32 v4, 0xbe903f40, v35
	v_fmac_f32_e32 v28, 0x3e903f40, v6
	v_add_f32_e32 v29, v29, v33
	v_fmac_f32_e32 v5, 0x3f68dda4, v6
	v_add_f32_e32 v33, v10, v12
	v_mov_b32_e32 v0, v4
	v_fma_f32 v4, v32, s9, -v4
	v_add_f32_e32 v28, v28, v31
	v_add_f32_e32 v31, v5, v1
	v_sub_f32_e32 v34, v9, v11
	v_mul_f32_e32 v5, 0xbf75a155, v33
	v_add_f32_e32 v4, v4, v8
	v_mul_f32_e32 v8, 0x3f0a6770, v35
	v_mul_f32_e32 v9, 0x3f575c64, v33
	;; [unrolled: 1-line block ×3, first 2 shown]
	v_mov_b32_e32 v1, v5
	v_mov_b32_e32 v6, v8
	;; [unrolled: 1-line block ×4, first 2 shown]
	v_fmac_f32_e32 v0, 0xbf75a155, v32
	v_fmac_f32_e32 v1, 0x3e903f40, v34
	v_fmac_f32_e32 v6, 0x3f575c64, v32
	v_fmac_f32_e32 v7, 0xbf0a6770, v34
	v_fmac_f32_e32 v10, 0xbf27a4f4, v32
	v_add_f32_e32 v0, v0, v13
	v_add_f32_e32 v1, v1, v16
	v_fmac_f32_e32 v5, 0xbe903f40, v34
	v_add_f32_e32 v6, v6, v17
	v_add_f32_e32 v7, v7, v20
	v_fma_f32 v8, v32, s3, -v8
	v_fmac_f32_e32 v9, 0x3f0a6770, v34
	v_add_f32_e32 v10, v10, v21
	v_mul_f32_e32 v13, 0xbf27a4f4, v33
	v_fma_f32 v12, v32, s8, -v12
	v_mul_f32_e32 v16, 0x3f68dda4, v35
	v_mul_f32_e32 v17, 0x3ed4b147, v33
	v_mul_f32_e32 v20, 0xbf7d64f0, v35
	v_mul_f32_e32 v21, 0xbe11bafb, v33
	v_add_f32_e32 v5, v5, v14
	v_add_f32_e32 v8, v8, v15
	;; [unrolled: 1-line block ×3, first 2 shown]
	v_mov_b32_e32 v11, v13
	v_add_f32_e32 v12, v12, v19
	v_mov_b32_e32 v14, v16
	v_mov_b32_e32 v15, v17
	;; [unrolled: 1-line block ×4, first 2 shown]
	v_fmac_f32_e32 v11, 0x3f4178ce, v34
	v_fmac_f32_e32 v13, 0xbf4178ce, v34
	;; [unrolled: 1-line block ×4, first 2 shown]
	v_fma_f32 v16, v32, s0, -v16
	v_fmac_f32_e32 v17, 0x3f68dda4, v34
	v_fmac_f32_e32 v18, 0xbe11bafb, v32
	;; [unrolled: 1-line block ×3, first 2 shown]
	v_fma_f32 v20, v32, s1, -v20
	v_fmac_f32_e32 v21, 0xbf7d64f0, v34
	s_movk_i32 s2, 0x1000
	v_add_f32_e32 v11, v11, v24
	v_add_f32_e32 v13, v13, v22
	;; [unrolled: 1-line block ×10, first 2 shown]
	ds_write_b64 v94, v[2:3]
	ds_write2_b64 v94, v[0:1], v[6:7] offset0:68 offset1:136
	v_add_u32_e32 v3, 0x400, v94
	v_add_u32_e32 v2, 0x800, v94
	;; [unrolled: 1-line block ×4, first 2 shown]
	ds_write2_b64 v3, v[10:11], v[14:15] offset0:76 offset1:144
	ds_write2_b64 v2, v[18:19], v[20:21] offset0:84 offset1:152
	;; [unrolled: 1-line block ×4, first 2 shown]
	s_waitcnt lgkmcnt(0)
	s_barrier
	s_and_b64 exec, exec, vcc
	s_cbranch_execz .LBB0_23
; %bb.22:
	global_load_dwordx2 v[4:5], v88, s[12:13]
	ds_read_b64 v[8:9], v94
	v_mad_u64_u32 v[6:7], s[0:1], s6, v60, 0
	v_mad_u64_u32 v[10:11], s[0:1], s4, v87, 0
	s_waitcnt lgkmcnt(0)
	v_mad_u64_u32 v[12:13], s[6:7], s7, v60, v[7:8]
	s_mov_b32 s0, 0xb8d015e7
	s_mov_b32 s1, 0x3f55e75b
	v_mad_u64_u32 v[13:14], s[6:7], s5, v87, v[11:12]
	v_mov_b32_e32 v15, s15
	s_mul_i32 s6, s5, 0x160
	v_mov_b32_e32 v11, v13
	v_lshlrev_b64 v[10:11], 3, v[10:11]
	s_mul_hi_u32 s7, s4, 0x160
	s_mul_i32 s3, s4, 0x160
	s_add_i32 s6, s7, s6
	s_waitcnt vmcnt(0)
	v_mul_f32_e32 v7, v9, v5
	v_mul_f32_e32 v5, v8, v5
	v_fmac_f32_e32 v7, v8, v4
	v_fma_f32 v8, v4, v9, -v5
	v_cvt_f64_f32_e32 v[4:5], v7
	v_cvt_f64_f32_e32 v[8:9], v8
	v_mov_b32_e32 v7, v12
	v_lshlrev_b64 v[6:7], 3, v[6:7]
	v_mul_f64 v[4:5], v[4:5], s[0:1]
	v_mul_f64 v[8:9], v[8:9], s[0:1]
	v_add_co_u32_e32 v12, vcc, s14, v6
	v_addc_co_u32_e32 v13, vcc, v15, v7, vcc
	v_cvt_f32_f64_e32 v4, v[4:5]
	v_cvt_f32_f64_e32 v5, v[8:9]
	v_add_co_u32_e32 v8, vcc, v12, v10
	v_addc_co_u32_e32 v9, vcc, v13, v11, vcc
	global_store_dwordx2 v[8:9], v[4:5], off
	global_load_dwordx2 v[10:11], v88, s[12:13] offset:352
	ds_read2_b64 v[4:7], v94 offset0:44 offset1:88
	v_add_co_u32_e32 v8, vcc, s3, v8
	s_waitcnt vmcnt(0) lgkmcnt(0)
	v_mul_f32_e32 v14, v5, v11
	v_mul_f32_e32 v11, v4, v11
	v_fmac_f32_e32 v14, v4, v10
	v_fma_f32 v10, v10, v5, -v11
	v_cvt_f64_f32_e32 v[4:5], v14
	v_cvt_f64_f32_e32 v[10:11], v10
	v_mov_b32_e32 v14, s6
	v_addc_co_u32_e32 v9, vcc, v9, v14, vcc
	v_mul_f64 v[4:5], v[4:5], s[0:1]
	v_mul_f64 v[10:11], v[10:11], s[0:1]
	v_cvt_f32_f64_e32 v4, v[4:5]
	v_cvt_f32_f64_e32 v5, v[10:11]
	global_store_dwordx2 v[8:9], v[4:5], off
	global_load_dwordx2 v[4:5], v88, s[12:13] offset:704
	v_add_co_u32_e32 v8, vcc, s3, v8
	s_waitcnt vmcnt(0)
	v_mul_f32_e32 v10, v7, v5
	v_mul_f32_e32 v5, v6, v5
	v_fmac_f32_e32 v10, v6, v4
	v_fma_f32 v6, v4, v7, -v5
	v_cvt_f64_f32_e32 v[4:5], v10
	v_cvt_f64_f32_e32 v[6:7], v6
	v_mov_b32_e32 v10, s6
	v_addc_co_u32_e32 v9, vcc, v9, v10, vcc
	v_mul_f64 v[4:5], v[4:5], s[0:1]
	v_mul_f64 v[6:7], v[6:7], s[0:1]
	v_cvt_f32_f64_e32 v4, v[4:5]
	v_cvt_f32_f64_e32 v5, v[6:7]
	global_store_dwordx2 v[8:9], v[4:5], off
	global_load_dwordx2 v[10:11], v88, s[12:13] offset:1056
	ds_read2_b64 v[4:7], v94 offset0:132 offset1:176
	v_add_co_u32_e32 v8, vcc, s3, v8
	s_waitcnt vmcnt(0) lgkmcnt(0)
	v_mul_f32_e32 v14, v5, v11
	v_mul_f32_e32 v11, v4, v11
	v_fmac_f32_e32 v14, v4, v10
	v_fma_f32 v10, v10, v5, -v11
	v_cvt_f64_f32_e32 v[4:5], v14
	v_cvt_f64_f32_e32 v[10:11], v10
	v_mov_b32_e32 v14, s6
	v_addc_co_u32_e32 v9, vcc, v9, v14, vcc
	v_mul_f64 v[4:5], v[4:5], s[0:1]
	v_mul_f64 v[10:11], v[10:11], s[0:1]
	v_cvt_f32_f64_e32 v4, v[4:5]
	v_cvt_f32_f64_e32 v5, v[10:11]
	global_store_dwordx2 v[8:9], v[4:5], off
	global_load_dwordx2 v[4:5], v88, s[12:13] offset:1408
	s_waitcnt vmcnt(0)
	v_mul_f32_e32 v10, v7, v5
	v_mul_f32_e32 v5, v6, v5
	v_fmac_f32_e32 v10, v6, v4
	v_fma_f32 v6, v4, v7, -v5
	v_cvt_f64_f32_e32 v[4:5], v10
	v_cvt_f64_f32_e32 v[6:7], v6
	v_mov_b32_e32 v10, s6
	v_mul_f64 v[4:5], v[4:5], s[0:1]
	v_mul_f64 v[6:7], v[6:7], s[0:1]
	v_cvt_f32_f64_e32 v4, v[4:5]
	v_cvt_f32_f64_e32 v5, v[6:7]
	v_add_co_u32_e32 v7, vcc, s3, v8
	v_addc_co_u32_e32 v8, vcc, v9, v10, vcc
	global_store_dwordx2 v[7:8], v[4:5], off
	global_load_dwordx2 v[9:10], v88, s[12:13] offset:1760
	ds_read2_b64 v[3:6], v3 offset0:92 offset1:136
	v_add_co_u32_e32 v7, vcc, s3, v7
	s_waitcnt vmcnt(0) lgkmcnt(0)
	v_mul_f32_e32 v11, v4, v10
	v_mul_f32_e32 v10, v3, v10
	v_fmac_f32_e32 v11, v3, v9
	v_fma_f32 v9, v9, v4, -v10
	v_cvt_f64_f32_e32 v[3:4], v11
	v_cvt_f64_f32_e32 v[9:10], v9
	v_mov_b32_e32 v11, s6
	v_addc_co_u32_e32 v8, vcc, v8, v11, vcc
	v_mul_f64 v[3:4], v[3:4], s[0:1]
	v_mul_f64 v[9:10], v[9:10], s[0:1]
	v_cvt_f32_f64_e32 v3, v[3:4]
	v_cvt_f32_f64_e32 v4, v[9:10]
	global_store_dwordx2 v[7:8], v[3:4], off
	global_load_dwordx2 v[3:4], v88, s[12:13] offset:2112
	v_add_co_u32_e32 v7, vcc, s3, v7
	s_waitcnt vmcnt(0)
	v_mul_f32_e32 v9, v6, v4
	v_mul_f32_e32 v4, v5, v4
	v_fmac_f32_e32 v9, v5, v3
	v_fma_f32 v5, v3, v6, -v4
	v_cvt_f64_f32_e32 v[3:4], v9
	v_cvt_f64_f32_e32 v[5:6], v5
	v_mov_b32_e32 v9, s6
	v_addc_co_u32_e32 v8, vcc, v8, v9, vcc
	v_mul_f64 v[3:4], v[3:4], s[0:1]
	v_mul_f64 v[5:6], v[5:6], s[0:1]
	v_cvt_f32_f64_e32 v3, v[3:4]
	v_cvt_f32_f64_e32 v4, v[5:6]
	global_store_dwordx2 v[7:8], v[3:4], off
	global_load_dwordx2 v[9:10], v88, s[12:13] offset:2464
	ds_read2_b64 v[3:6], v2 offset0:52 offset1:96
	v_add_co_u32_e32 v7, vcc, s3, v7
	s_waitcnt vmcnt(0) lgkmcnt(0)
	v_mul_f32_e32 v11, v4, v10
	v_mul_f32_e32 v10, v3, v10
	v_fmac_f32_e32 v11, v3, v9
	v_fma_f32 v9, v9, v4, -v10
	v_cvt_f64_f32_e32 v[3:4], v11
	v_cvt_f64_f32_e32 v[9:10], v9
	v_mov_b32_e32 v11, s6
	v_addc_co_u32_e32 v8, vcc, v8, v11, vcc
	v_mul_f64 v[3:4], v[3:4], s[0:1]
	v_mul_f64 v[9:10], v[9:10], s[0:1]
	v_cvt_f32_f64_e32 v3, v[3:4]
	v_cvt_f32_f64_e32 v4, v[9:10]
	global_store_dwordx2 v[7:8], v[3:4], off
	global_load_dwordx2 v[3:4], v88, s[12:13] offset:2816
	s_waitcnt vmcnt(0)
	v_mul_f32_e32 v9, v6, v4
	v_mul_f32_e32 v4, v5, v4
	v_fmac_f32_e32 v9, v5, v3
	v_fma_f32 v5, v3, v6, -v4
	v_cvt_f64_f32_e32 v[3:4], v9
	v_cvt_f64_f32_e32 v[5:6], v5
	v_mov_b32_e32 v9, s6
	v_mul_f64 v[3:4], v[3:4], s[0:1]
	v_mul_f64 v[5:6], v[5:6], s[0:1]
	v_cvt_f32_f64_e32 v3, v[3:4]
	v_cvt_f32_f64_e32 v4, v[5:6]
	v_add_co_u32_e32 v6, vcc, s3, v7
	v_addc_co_u32_e32 v7, vcc, v8, v9, vcc
	global_store_dwordx2 v[6:7], v[3:4], off
	global_load_dwordx2 v[8:9], v88, s[12:13] offset:3168
	ds_read2_b64 v[2:5], v2 offset0:140 offset1:184
	v_add_co_u32_e32 v6, vcc, s3, v6
	s_waitcnt vmcnt(0) lgkmcnt(0)
	v_mul_f32_e32 v10, v3, v9
	v_mul_f32_e32 v9, v2, v9
	v_fmac_f32_e32 v10, v2, v8
	v_fma_f32 v8, v8, v3, -v9
	v_cvt_f64_f32_e32 v[2:3], v10
	v_cvt_f64_f32_e32 v[8:9], v8
	v_mov_b32_e32 v10, s6
	v_addc_co_u32_e32 v7, vcc, v7, v10, vcc
	v_mul_f64 v[2:3], v[2:3], s[0:1]
	v_mul_f64 v[8:9], v[8:9], s[0:1]
	v_cvt_f32_f64_e32 v2, v[2:3]
	v_cvt_f32_f64_e32 v3, v[8:9]
	global_store_dwordx2 v[6:7], v[2:3], off
	global_load_dwordx2 v[2:3], v88, s[12:13] offset:3520
	s_waitcnt vmcnt(0)
	v_mul_f32_e32 v8, v5, v3
	v_mul_f32_e32 v3, v4, v3
	v_fmac_f32_e32 v8, v4, v2
	v_fma_f32 v4, v2, v5, -v3
	v_cvt_f64_f32_e32 v[2:3], v8
	v_cvt_f64_f32_e32 v[4:5], v4
	v_mov_b32_e32 v8, s6
	v_mul_f64 v[2:3], v[2:3], s[0:1]
	v_mul_f64 v[4:5], v[4:5], s[0:1]
	v_cvt_f32_f64_e32 v2, v[2:3]
	v_cvt_f32_f64_e32 v3, v[4:5]
	v_add_co_u32_e32 v5, vcc, s3, v6
	v_addc_co_u32_e32 v6, vcc, v7, v8, vcc
	global_store_dwordx2 v[5:6], v[2:3], off
	global_load_dwordx2 v[7:8], v88, s[12:13] offset:3872
	ds_read2_b64 v[1:4], v1 offset0:100 offset1:144
	v_add_co_u32_e32 v10, vcc, s12, v88
	s_waitcnt vmcnt(0) lgkmcnt(0)
	v_mul_f32_e32 v9, v2, v8
	v_mul_f32_e32 v8, v1, v8
	v_fmac_f32_e32 v9, v1, v7
	v_fma_f32 v7, v7, v2, -v8
	v_cvt_f64_f32_e32 v[1:2], v9
	v_cvt_f64_f32_e32 v[7:8], v7
	v_mov_b32_e32 v9, s13
	v_addc_co_u32_e32 v11, vcc, 0, v9, vcc
	v_mul_f64 v[1:2], v[1:2], s[0:1]
	v_mul_f64 v[7:8], v[7:8], s[0:1]
	v_add_co_u32_e32 v9, vcc, s2, v10
	v_addc_co_u32_e32 v10, vcc, 0, v11, vcc
	v_add_co_u32_e32 v5, vcc, s3, v5
	v_cvt_f32_f64_e32 v1, v[1:2]
	v_cvt_f32_f64_e32 v2, v[7:8]
	v_addc_co_u32_e32 v6, vcc, v6, v14, vcc
	global_store_dwordx2 v[5:6], v[1:2], off
	global_load_dwordx2 v[1:2], v[9:10], off offset:128
	v_add_co_u32_e32 v5, vcc, s3, v5
	s_waitcnt vmcnt(0)
	v_mul_f32_e32 v7, v4, v2
	v_mul_f32_e32 v2, v3, v2
	v_fmac_f32_e32 v7, v3, v1
	v_fma_f32 v3, v1, v4, -v2
	v_cvt_f64_f32_e32 v[1:2], v7
	v_cvt_f64_f32_e32 v[3:4], v3
	v_mov_b32_e32 v7, s6
	v_addc_co_u32_e32 v6, vcc, v6, v7, vcc
	v_mul_f64 v[1:2], v[1:2], s[0:1]
	v_mul_f64 v[3:4], v[3:4], s[0:1]
	v_cvt_f32_f64_e32 v1, v[1:2]
	v_cvt_f32_f64_e32 v2, v[3:4]
	global_store_dwordx2 v[5:6], v[1:2], off
	global_load_dwordx2 v[7:8], v[9:10], off offset:480
	ds_read2_b64 v[1:4], v0 offset0:60 offset1:104
	v_add_co_u32_e32 v5, vcc, s3, v5
	s_waitcnt vmcnt(0) lgkmcnt(0)
	v_mul_f32_e32 v11, v2, v8
	v_mul_f32_e32 v8, v1, v8
	v_fmac_f32_e32 v11, v1, v7
	v_fma_f32 v7, v7, v2, -v8
	v_cvt_f64_f32_e32 v[1:2], v11
	v_cvt_f64_f32_e32 v[7:8], v7
	v_mov_b32_e32 v11, s6
	v_addc_co_u32_e32 v6, vcc, v6, v11, vcc
	v_mul_f64 v[1:2], v[1:2], s[0:1]
	v_mul_f64 v[7:8], v[7:8], s[0:1]
	v_cvt_f32_f64_e32 v1, v[1:2]
	v_cvt_f32_f64_e32 v2, v[7:8]
	global_store_dwordx2 v[5:6], v[1:2], off
	global_load_dwordx2 v[1:2], v[9:10], off offset:832
	s_waitcnt vmcnt(0)
	v_mul_f32_e32 v7, v4, v2
	v_mul_f32_e32 v2, v3, v2
	v_fmac_f32_e32 v7, v3, v1
	v_fma_f32 v3, v1, v4, -v2
	v_cvt_f64_f32_e32 v[1:2], v7
	v_cvt_f64_f32_e32 v[3:4], v3
	v_mov_b32_e32 v7, s6
	v_mul_f64 v[1:2], v[1:2], s[0:1]
	v_mul_f64 v[3:4], v[3:4], s[0:1]
	v_cvt_f32_f64_e32 v1, v[1:2]
	v_cvt_f32_f64_e32 v2, v[3:4]
	v_add_co_u32_e32 v4, vcc, s3, v5
	v_addc_co_u32_e32 v5, vcc, v6, v7, vcc
	global_store_dwordx2 v[4:5], v[1:2], off
	global_load_dwordx2 v[6:7], v[9:10], off offset:1184
	ds_read2_b64 v[0:3], v0 offset0:148 offset1:192
	v_mov_b32_e32 v10, s6
	v_add_co_u32_e32 v4, vcc, s3, v4
	v_addc_co_u32_e32 v5, vcc, v5, v10, vcc
	s_waitcnt vmcnt(0) lgkmcnt(0)
	v_mul_f32_e32 v8, v1, v7
	v_mul_f32_e32 v7, v0, v7
	v_fmac_f32_e32 v8, v0, v6
	v_fma_f32 v6, v6, v1, -v7
	v_cvt_f64_f32_e32 v[0:1], v8
	v_cvt_f64_f32_e32 v[6:7], v6
	v_or_b32_e32 v8, 0x2c0, v87
	v_lshlrev_b32_e32 v9, 3, v8
	v_mul_f64 v[0:1], v[0:1], s[0:1]
	v_mul_f64 v[6:7], v[6:7], s[0:1]
	v_cvt_f32_f64_e32 v0, v[0:1]
	v_cvt_f32_f64_e32 v1, v[6:7]
	global_store_dwordx2 v[4:5], v[0:1], off
	global_load_dwordx2 v[0:1], v9, s[12:13]
	v_mad_u64_u32 v[4:5], s[2:3], s4, v8, 0
	s_waitcnt vmcnt(0)
	v_mul_f32_e32 v6, v3, v1
	v_mul_f32_e32 v1, v2, v1
	v_fmac_f32_e32 v6, v2, v0
	v_fma_f32 v2, v0, v3, -v1
	v_cvt_f64_f32_e32 v[0:1], v6
	v_cvt_f64_f32_e32 v[2:3], v2
	v_mul_f64 v[0:1], v[0:1], s[0:1]
	v_mul_f64 v[2:3], v[2:3], s[0:1]
	v_mad_u64_u32 v[5:6], s[0:1], s5, v8, v[5:6]
	v_lshlrev_b64 v[4:5], 3, v[4:5]
	v_cvt_f32_f64_e32 v0, v[0:1]
	v_cvt_f32_f64_e32 v1, v[2:3]
	v_add_co_u32_e32 v2, vcc, v12, v4
	v_addc_co_u32_e32 v3, vcc, v13, v5, vcc
	global_store_dwordx2 v[2:3], v[0:1], off
.LBB0_23:
	s_endpgm
	.section	.rodata,"a",@progbits
	.p2align	6, 0x0
	.amdhsa_kernel bluestein_single_fwd_len748_dim1_sp_op_CI_CI
		.amdhsa_group_segment_fixed_size 17952
		.amdhsa_private_segment_fixed_size 8
		.amdhsa_kernarg_size 104
		.amdhsa_user_sgpr_count 6
		.amdhsa_user_sgpr_private_segment_buffer 1
		.amdhsa_user_sgpr_dispatch_ptr 0
		.amdhsa_user_sgpr_queue_ptr 0
		.amdhsa_user_sgpr_kernarg_segment_ptr 1
		.amdhsa_user_sgpr_dispatch_id 0
		.amdhsa_user_sgpr_flat_scratch_init 0
		.amdhsa_user_sgpr_private_segment_size 0
		.amdhsa_uses_dynamic_stack 0
		.amdhsa_system_sgpr_private_segment_wavefront_offset 1
		.amdhsa_system_sgpr_workgroup_id_x 1
		.amdhsa_system_sgpr_workgroup_id_y 0
		.amdhsa_system_sgpr_workgroup_id_z 0
		.amdhsa_system_sgpr_workgroup_info 0
		.amdhsa_system_vgpr_workitem_id 0
		.amdhsa_next_free_vgpr 256
		.amdhsa_next_free_sgpr 24
		.amdhsa_reserve_vcc 1
		.amdhsa_reserve_flat_scratch 0
		.amdhsa_float_round_mode_32 0
		.amdhsa_float_round_mode_16_64 0
		.amdhsa_float_denorm_mode_32 3
		.amdhsa_float_denorm_mode_16_64 3
		.amdhsa_dx10_clamp 1
		.amdhsa_ieee_mode 1
		.amdhsa_fp16_overflow 0
		.amdhsa_exception_fp_ieee_invalid_op 0
		.amdhsa_exception_fp_denorm_src 0
		.amdhsa_exception_fp_ieee_div_zero 0
		.amdhsa_exception_fp_ieee_overflow 0
		.amdhsa_exception_fp_ieee_underflow 0
		.amdhsa_exception_fp_ieee_inexact 0
		.amdhsa_exception_int_div_zero 0
	.end_amdhsa_kernel
	.text
.Lfunc_end0:
	.size	bluestein_single_fwd_len748_dim1_sp_op_CI_CI, .Lfunc_end0-bluestein_single_fwd_len748_dim1_sp_op_CI_CI
                                        ; -- End function
	.section	.AMDGPU.csdata,"",@progbits
; Kernel info:
; codeLenInByte = 20892
; NumSgprs: 28
; NumVgprs: 256
; ScratchSize: 8
; MemoryBound: 0
; FloatMode: 240
; IeeeMode: 1
; LDSByteSize: 17952 bytes/workgroup (compile time only)
; SGPRBlocks: 3
; VGPRBlocks: 63
; NumSGPRsForWavesPerEU: 28
; NumVGPRsForWavesPerEU: 256
; Occupancy: 1
; WaveLimiterHint : 1
; COMPUTE_PGM_RSRC2:SCRATCH_EN: 1
; COMPUTE_PGM_RSRC2:USER_SGPR: 6
; COMPUTE_PGM_RSRC2:TRAP_HANDLER: 0
; COMPUTE_PGM_RSRC2:TGID_X_EN: 1
; COMPUTE_PGM_RSRC2:TGID_Y_EN: 0
; COMPUTE_PGM_RSRC2:TGID_Z_EN: 0
; COMPUTE_PGM_RSRC2:TIDIG_COMP_CNT: 0
	.type	__hip_cuid_ff76e44f953a3cfb,@object ; @__hip_cuid_ff76e44f953a3cfb
	.section	.bss,"aw",@nobits
	.globl	__hip_cuid_ff76e44f953a3cfb
__hip_cuid_ff76e44f953a3cfb:
	.byte	0                               ; 0x0
	.size	__hip_cuid_ff76e44f953a3cfb, 1

	.ident	"AMD clang version 19.0.0git (https://github.com/RadeonOpenCompute/llvm-project roc-6.4.0 25133 c7fe45cf4b819c5991fe208aaa96edf142730f1d)"
	.section	".note.GNU-stack","",@progbits
	.addrsig
	.addrsig_sym __hip_cuid_ff76e44f953a3cfb
	.amdgpu_metadata
---
amdhsa.kernels:
  - .args:
      - .actual_access:  read_only
        .address_space:  global
        .offset:         0
        .size:           8
        .value_kind:     global_buffer
      - .actual_access:  read_only
        .address_space:  global
        .offset:         8
        .size:           8
        .value_kind:     global_buffer
      - .actual_access:  read_only
        .address_space:  global
        .offset:         16
        .size:           8
        .value_kind:     global_buffer
      - .actual_access:  read_only
        .address_space:  global
        .offset:         24
        .size:           8
        .value_kind:     global_buffer
      - .actual_access:  read_only
        .address_space:  global
        .offset:         32
        .size:           8
        .value_kind:     global_buffer
      - .offset:         40
        .size:           8
        .value_kind:     by_value
      - .address_space:  global
        .offset:         48
        .size:           8
        .value_kind:     global_buffer
      - .address_space:  global
        .offset:         56
        .size:           8
        .value_kind:     global_buffer
      - .address_space:  global
        .offset:         64
        .size:           8
        .value_kind:     global_buffer
      - .address_space:  global
        .offset:         72
        .size:           8
        .value_kind:     global_buffer
      - .offset:         80
        .size:           4
        .value_kind:     by_value
      - .address_space:  global
        .offset:         88
        .size:           8
        .value_kind:     global_buffer
      - .address_space:  global
        .offset:         96
        .size:           8
        .value_kind:     global_buffer
    .group_segment_fixed_size: 17952
    .kernarg_segment_align: 8
    .kernarg_segment_size: 104
    .language:       OpenCL C
    .language_version:
      - 2
      - 0
    .max_flat_workgroup_size: 204
    .name:           bluestein_single_fwd_len748_dim1_sp_op_CI_CI
    .private_segment_fixed_size: 8
    .sgpr_count:     28
    .sgpr_spill_count: 0
    .symbol:         bluestein_single_fwd_len748_dim1_sp_op_CI_CI.kd
    .uniform_work_group_size: 1
    .uses_dynamic_stack: false
    .vgpr_count:     256
    .vgpr_spill_count: 1
    .wavefront_size: 64
amdhsa.target:   amdgcn-amd-amdhsa--gfx906
amdhsa.version:
  - 1
  - 2
...

	.end_amdgpu_metadata
